;; amdgpu-corpus repo=ROCm/rocFFT kind=compiled arch=gfx906 opt=O3
	.text
	.amdgcn_target "amdgcn-amd-amdhsa--gfx906"
	.amdhsa_code_object_version 6
	.protected	fft_rtc_back_len546_factors_13_3_7_2_wgs_117_tpt_39_halfLds_dp_op_CI_CI_sbrr_dirReg ; -- Begin function fft_rtc_back_len546_factors_13_3_7_2_wgs_117_tpt_39_halfLds_dp_op_CI_CI_sbrr_dirReg
	.globl	fft_rtc_back_len546_factors_13_3_7_2_wgs_117_tpt_39_halfLds_dp_op_CI_CI_sbrr_dirReg
	.p2align	8
	.type	fft_rtc_back_len546_factors_13_3_7_2_wgs_117_tpt_39_halfLds_dp_op_CI_CI_sbrr_dirReg,@function
fft_rtc_back_len546_factors_13_3_7_2_wgs_117_tpt_39_halfLds_dp_op_CI_CI_sbrr_dirReg: ; @fft_rtc_back_len546_factors_13_3_7_2_wgs_117_tpt_39_halfLds_dp_op_CI_CI_sbrr_dirReg
; %bb.0:
	s_load_dwordx4 s[16:19], s[4:5], 0x18
	s_load_dwordx4 s[12:15], s[4:5], 0x0
	;; [unrolled: 1-line block ×3, first 2 shown]
	v_mul_u32_u24_e32 v1, 0x691, v0
	v_lshrrev_b32_e32 v1, 16, v1
	s_waitcnt lgkmcnt(0)
	s_load_dwordx2 s[2:3], s[16:17], 0x0
	s_load_dwordx2 s[20:21], s[18:19], 0x0
	v_mad_u64_u32 v[104:105], s[0:1], s6, 3, v[1:2]
	v_mov_b32_e32 v1, 0
	v_mov_b32_e32 v4, 0
	;; [unrolled: 1-line block ×3, first 2 shown]
	v_cmp_lt_u64_e64 s[0:1], s[14:15], 2
	v_mov_b32_e32 v5, 0
	v_mov_b32_e32 v131, v5
	;; [unrolled: 1-line block ×3, first 2 shown]
	s_and_b64 vcc, exec, s[0:1]
	v_mov_b32_e32 v130, v4
	v_mov_b32_e32 v132, v104
	s_cbranch_vccnz .LBB0_8
; %bb.1:
	s_load_dwordx2 s[0:1], s[4:5], 0x10
	s_add_u32 s6, s18, 8
	s_addc_u32 s7, s19, 0
	s_add_u32 s22, s16, 8
	v_mov_b32_e32 v4, 0
	s_addc_u32 s23, s17, 0
	v_mov_b32_e32 v5, 0
	s_waitcnt lgkmcnt(0)
	s_add_u32 s24, s0, 8
	v_mov_b32_e32 v131, v5
	v_mov_b32_e32 v6, v104
	s_addc_u32 s25, s1, 0
	s_mov_b64 s[26:27], 1
	v_mov_b32_e32 v130, v4
	v_mov_b32_e32 v7, v105
.LBB0_2:                                ; =>This Inner Loop Header: Depth=1
	s_load_dwordx2 s[28:29], s[24:25], 0x0
                                        ; implicit-def: $vgpr132_vgpr133
	s_waitcnt lgkmcnt(0)
	v_or_b32_e32 v2, s29, v7
	v_cmp_ne_u64_e32 vcc, 0, v[1:2]
	s_and_saveexec_b64 s[0:1], vcc
	s_xor_b64 s[30:31], exec, s[0:1]
	s_cbranch_execz .LBB0_4
; %bb.3:                                ;   in Loop: Header=BB0_2 Depth=1
	v_cvt_f32_u32_e32 v2, s28
	v_cvt_f32_u32_e32 v3, s29
	s_sub_u32 s0, 0, s28
	s_subb_u32 s1, 0, s29
	v_mac_f32_e32 v2, 0x4f800000, v3
	v_rcp_f32_e32 v2, v2
	v_mul_f32_e32 v2, 0x5f7ffffc, v2
	v_mul_f32_e32 v3, 0x2f800000, v2
	v_trunc_f32_e32 v3, v3
	v_mac_f32_e32 v2, 0xcf800000, v3
	v_cvt_u32_f32_e32 v3, v3
	v_cvt_u32_f32_e32 v2, v2
	v_mul_lo_u32 v8, s0, v3
	v_mul_hi_u32 v9, s0, v2
	v_mul_lo_u32 v11, s1, v2
	v_mul_lo_u32 v10, s0, v2
	v_add_u32_e32 v8, v9, v8
	v_add_u32_e32 v8, v8, v11
	v_mul_hi_u32 v9, v2, v10
	v_mul_lo_u32 v11, v2, v8
	v_mul_hi_u32 v13, v2, v8
	v_mul_hi_u32 v12, v3, v10
	v_mul_lo_u32 v10, v3, v10
	v_mul_hi_u32 v14, v3, v8
	v_add_co_u32_e32 v9, vcc, v9, v11
	v_addc_co_u32_e32 v11, vcc, 0, v13, vcc
	v_mul_lo_u32 v8, v3, v8
	v_add_co_u32_e32 v9, vcc, v9, v10
	v_addc_co_u32_e32 v9, vcc, v11, v12, vcc
	v_addc_co_u32_e32 v10, vcc, 0, v14, vcc
	v_add_co_u32_e32 v8, vcc, v9, v8
	v_addc_co_u32_e32 v9, vcc, 0, v10, vcc
	v_add_co_u32_e32 v2, vcc, v2, v8
	v_addc_co_u32_e32 v3, vcc, v3, v9, vcc
	v_mul_lo_u32 v8, s0, v3
	v_mul_hi_u32 v9, s0, v2
	v_mul_lo_u32 v10, s1, v2
	v_mul_lo_u32 v11, s0, v2
	v_add_u32_e32 v8, v9, v8
	v_add_u32_e32 v8, v8, v10
	v_mul_lo_u32 v12, v2, v8
	v_mul_hi_u32 v13, v2, v11
	v_mul_hi_u32 v14, v2, v8
	;; [unrolled: 1-line block ×3, first 2 shown]
	v_mul_lo_u32 v11, v3, v11
	v_mul_hi_u32 v9, v3, v8
	v_add_co_u32_e32 v12, vcc, v13, v12
	v_addc_co_u32_e32 v13, vcc, 0, v14, vcc
	v_mul_lo_u32 v8, v3, v8
	v_add_co_u32_e32 v11, vcc, v12, v11
	v_addc_co_u32_e32 v10, vcc, v13, v10, vcc
	v_addc_co_u32_e32 v9, vcc, 0, v9, vcc
	v_add_co_u32_e32 v8, vcc, v10, v8
	v_addc_co_u32_e32 v9, vcc, 0, v9, vcc
	v_add_co_u32_e32 v8, vcc, v2, v8
	v_addc_co_u32_e32 v9, vcc, v3, v9, vcc
	v_mad_u64_u32 v[2:3], s[0:1], v6, v9, 0
	v_mul_hi_u32 v10, v6, v8
	v_add_co_u32_e32 v10, vcc, v10, v2
	v_addc_co_u32_e32 v11, vcc, 0, v3, vcc
	v_mad_u64_u32 v[2:3], s[0:1], v7, v8, 0
	v_mad_u64_u32 v[8:9], s[0:1], v7, v9, 0
	v_add_co_u32_e32 v2, vcc, v10, v2
	v_addc_co_u32_e32 v2, vcc, v11, v3, vcc
	v_addc_co_u32_e32 v3, vcc, 0, v9, vcc
	v_add_co_u32_e32 v8, vcc, v2, v8
	v_addc_co_u32_e32 v9, vcc, 0, v3, vcc
	v_mul_lo_u32 v10, s29, v8
	v_mul_lo_u32 v11, s28, v9
	v_mad_u64_u32 v[2:3], s[0:1], s28, v8, 0
	v_add3_u32 v3, v3, v11, v10
	v_sub_u32_e32 v10, v7, v3
	v_mov_b32_e32 v11, s29
	v_sub_co_u32_e32 v2, vcc, v6, v2
	v_subb_co_u32_e64 v10, s[0:1], v10, v11, vcc
	v_subrev_co_u32_e64 v11, s[0:1], s28, v2
	v_subbrev_co_u32_e64 v10, s[0:1], 0, v10, s[0:1]
	v_cmp_le_u32_e64 s[0:1], s29, v10
	v_cndmask_b32_e64 v12, 0, -1, s[0:1]
	v_cmp_le_u32_e64 s[0:1], s28, v11
	v_cndmask_b32_e64 v11, 0, -1, s[0:1]
	v_cmp_eq_u32_e64 s[0:1], s29, v10
	v_cndmask_b32_e64 v10, v12, v11, s[0:1]
	v_add_co_u32_e64 v11, s[0:1], 2, v8
	v_addc_co_u32_e64 v12, s[0:1], 0, v9, s[0:1]
	v_add_co_u32_e64 v13, s[0:1], 1, v8
	v_addc_co_u32_e64 v14, s[0:1], 0, v9, s[0:1]
	v_subb_co_u32_e32 v3, vcc, v7, v3, vcc
	v_cmp_ne_u32_e64 s[0:1], 0, v10
	v_cmp_le_u32_e32 vcc, s29, v3
	v_cndmask_b32_e64 v10, v14, v12, s[0:1]
	v_cndmask_b32_e64 v12, 0, -1, vcc
	v_cmp_le_u32_e32 vcc, s28, v2
	v_cndmask_b32_e64 v2, 0, -1, vcc
	v_cmp_eq_u32_e32 vcc, s29, v3
	v_cndmask_b32_e32 v2, v12, v2, vcc
	v_cmp_ne_u32_e32 vcc, 0, v2
	v_cndmask_b32_e64 v2, v13, v11, s[0:1]
	v_cndmask_b32_e32 v133, v9, v10, vcc
	v_cndmask_b32_e32 v132, v8, v2, vcc
.LBB0_4:                                ;   in Loop: Header=BB0_2 Depth=1
	s_andn2_saveexec_b64 s[0:1], s[30:31]
	s_cbranch_execz .LBB0_6
; %bb.5:                                ;   in Loop: Header=BB0_2 Depth=1
	v_cvt_f32_u32_e32 v2, s28
	s_sub_i32 s30, 0, s28
	v_mov_b32_e32 v133, v1
	v_rcp_iflag_f32_e32 v2, v2
	v_mul_f32_e32 v2, 0x4f7ffffe, v2
	v_cvt_u32_f32_e32 v2, v2
	v_mul_lo_u32 v3, s30, v2
	v_mul_hi_u32 v3, v2, v3
	v_add_u32_e32 v2, v2, v3
	v_mul_hi_u32 v2, v6, v2
	v_mul_lo_u32 v3, v2, s28
	v_add_u32_e32 v8, 1, v2
	v_sub_u32_e32 v3, v6, v3
	v_subrev_u32_e32 v9, s28, v3
	v_cmp_le_u32_e32 vcc, s28, v3
	v_cndmask_b32_e32 v3, v3, v9, vcc
	v_cndmask_b32_e32 v2, v2, v8, vcc
	v_add_u32_e32 v8, 1, v2
	v_cmp_le_u32_e32 vcc, s28, v3
	v_cndmask_b32_e32 v132, v2, v8, vcc
.LBB0_6:                                ;   in Loop: Header=BB0_2 Depth=1
	s_or_b64 exec, exec, s[0:1]
	v_mul_lo_u32 v8, v133, s28
	v_mul_lo_u32 v9, v132, s29
	v_mad_u64_u32 v[2:3], s[0:1], v132, s28, 0
	s_load_dwordx2 s[0:1], s[22:23], 0x0
	s_load_dwordx2 s[28:29], s[6:7], 0x0
	v_add3_u32 v3, v3, v9, v8
	v_sub_co_u32_e32 v2, vcc, v6, v2
	v_subb_co_u32_e32 v3, vcc, v7, v3, vcc
	s_waitcnt lgkmcnt(0)
	v_mul_lo_u32 v6, s0, v3
	v_mul_lo_u32 v7, s1, v2
	v_mad_u64_u32 v[4:5], s[0:1], s0, v2, v[4:5]
	v_mul_lo_u32 v3, s28, v3
	v_mul_lo_u32 v8, s29, v2
	v_mad_u64_u32 v[130:131], s[0:1], s28, v2, v[130:131]
	s_add_u32 s26, s26, 1
	s_addc_u32 s27, s27, 0
	s_add_u32 s6, s6, 8
	v_add3_u32 v131, v8, v131, v3
	s_addc_u32 s7, s7, 0
	v_mov_b32_e32 v2, s14
	s_add_u32 s22, s22, 8
	v_mov_b32_e32 v3, s15
	s_addc_u32 s23, s23, 0
	v_cmp_ge_u64_e32 vcc, s[26:27], v[2:3]
	s_add_u32 s24, s24, 8
	v_add3_u32 v5, v7, v5, v6
	s_addc_u32 s25, s25, 0
	s_cbranch_vccnz .LBB0_8
; %bb.7:                                ;   in Loop: Header=BB0_2 Depth=1
	v_mov_b32_e32 v6, v132
	v_mov_b32_e32 v7, v133
	s_branch .LBB0_2
.LBB0_8:
	s_load_dwordx2 s[0:1], s[4:5], 0x28
	s_lshl_b64 s[14:15], s[14:15], 3
	s_add_u32 s4, s18, s14
	s_addc_u32 s5, s19, s15
                                        ; implicit-def: $vgpr128
	s_waitcnt lgkmcnt(0)
	v_cmp_gt_u64_e32 vcc, s[0:1], v[132:133]
	v_cmp_le_u64_e64 s[0:1], s[0:1], v[132:133]
	s_and_saveexec_b64 s[6:7], s[0:1]
	s_xor_b64 s[0:1], exec, s[6:7]
; %bb.9:
	s_mov_b32 s6, 0x6906907
	v_mul_hi_u32 v1, v0, s6
                                        ; implicit-def: $vgpr4_vgpr5
	v_mul_u32_u24_e32 v1, 39, v1
	v_sub_u32_e32 v128, v0, v1
                                        ; implicit-def: $vgpr0
; %bb.10:
	s_or_saveexec_b64 s[6:7], s[0:1]
	s_load_dwordx2 s[4:5], s[4:5], 0x0
                                        ; implicit-def: $vgpr90_vgpr91
                                        ; implicit-def: $vgpr86_vgpr87
                                        ; implicit-def: $vgpr98_vgpr99
                                        ; implicit-def: $vgpr78_vgpr79
                                        ; implicit-def: $vgpr74_vgpr75
                                        ; implicit-def: $vgpr62_vgpr63
                                        ; implicit-def: $vgpr58_vgpr59
                                        ; implicit-def: $vgpr46_vgpr47
                                        ; implicit-def: $vgpr50_vgpr51
                                        ; implicit-def: $vgpr38_vgpr39
                                        ; implicit-def: $vgpr42_vgpr43
                                        ; implicit-def: $vgpr22_vgpr23
                                        ; implicit-def: $vgpr2_vgpr3
                                        ; implicit-def: $vgpr102_vgpr103
                                        ; implicit-def: $vgpr94_vgpr95
                                        ; implicit-def: $vgpr70_vgpr71
                                        ; implicit-def: $vgpr54_vgpr55
                                        ; implicit-def: $vgpr30_vgpr31
                                        ; implicit-def: $vgpr10_vgpr11
                                        ; implicit-def: $vgpr6_vgpr7
                                        ; implicit-def: $vgpr14_vgpr15
                                        ; implicit-def: $vgpr18_vgpr19
                                        ; implicit-def: $vgpr34_vgpr35
                                        ; implicit-def: $vgpr66_vgpr67
                                        ; implicit-def: $vgpr82_vgpr83
                                        ; implicit-def: $vgpr26_vgpr27
	s_xor_b64 exec, exec, s[6:7]
	s_cbranch_execz .LBB0_14
; %bb.11:
	s_add_u32 s0, s16, s14
	s_mov_b32 s14, 0x6906907
	s_addc_u32 s1, s17, s15
	v_mul_hi_u32 v1, v0, s14
	s_load_dwordx2 s[0:1], s[0:1], 0x0
                                        ; implicit-def: $vgpr40_vgpr41
                                        ; implicit-def: $vgpr48_vgpr49
                                        ; implicit-def: $vgpr44_vgpr45
                                        ; implicit-def: $vgpr56_vgpr57
                                        ; implicit-def: $vgpr60_vgpr61
                                        ; implicit-def: $vgpr72_vgpr73
                                        ; implicit-def: $vgpr76_vgpr77
                                        ; implicit-def: $vgpr96_vgpr97
                                        ; implicit-def: $vgpr84_vgpr85
                                        ; implicit-def: $vgpr88_vgpr89
	v_mul_u32_u24_e32 v1, 39, v1
	v_sub_u32_e32 v128, v0, v1
	s_waitcnt lgkmcnt(0)
	v_mul_lo_u32 v8, s1, v132
	v_mad_u64_u32 v[0:1], s[14:15], s2, v128, 0
	v_mul_lo_u32 v9, s0, v133
	v_mad_u64_u32 v[2:3], s[0:1], s0, v132, 0
	v_add_u32_e32 v28, 0x17a, v128
	v_add_u32_e32 v36, 0x1ce, v128
	v_mad_u64_u32 v[6:7], s[0:1], s3, v128, v[1:2]
	v_add3_u32 v3, v3, v9, v8
	v_lshlrev_b64 v[2:3], 4, v[2:3]
	v_mov_b32_e32 v1, v6
	v_mov_b32_e32 v6, s9
	v_add_co_u32_e64 v7, s[0:1], s8, v2
	v_add_u32_e32 v8, 42, v128
	v_addc_co_u32_e64 v6, s[0:1], v6, v3, s[0:1]
	v_lshlrev_b64 v[2:3], 4, v[4:5]
	v_mad_u64_u32 v[4:5], s[0:1], s2, v8, 0
	v_add_co_u32_e64 v90, s[0:1], v7, v2
	v_mov_b32_e32 v2, v5
	v_addc_co_u32_e64 v91, s[0:1], v6, v3, s[0:1]
	v_mad_u64_u32 v[2:3], s[0:1], s3, v8, v[2:3]
	v_lshlrev_b64 v[0:1], 4, v[0:1]
	v_add_u32_e32 v6, 0x54, v128
	v_add_co_u32_e64 v0, s[0:1], v90, v0
	v_mov_b32_e32 v5, v2
	v_addc_co_u32_e64 v1, s[0:1], v91, v1, s[0:1]
	v_lshlrev_b64 v[2:3], 4, v[4:5]
	v_mad_u64_u32 v[4:5], s[0:1], s2, v6, 0
	v_add_co_u32_e64 v2, s[0:1], v90, v2
	v_addc_co_u32_e64 v3, s[0:1], v91, v3, s[0:1]
	v_mad_u64_u32 v[5:6], s[0:1], s3, v6, v[5:6]
	v_add_u32_e32 v8, 0x7e, v128
	v_mad_u64_u32 v[6:7], s[0:1], s2, v8, 0
	global_load_dwordx4 v[24:27], v[0:1], off
	global_load_dwordx4 v[80:83], v[2:3], off
	v_lshlrev_b64 v[0:1], 4, v[4:5]
	v_mov_b32_e32 v2, v7
	v_mad_u64_u32 v[2:3], s[0:1], s3, v8, v[2:3]
	v_add_co_u32_e64 v0, s[0:1], v90, v0
	v_mov_b32_e32 v7, v2
	v_lshlrev_b64 v[2:3], 4, v[6:7]
	v_add_u32_e32 v6, 0xa8, v128
	v_addc_co_u32_e64 v1, s[0:1], v91, v1, s[0:1]
	v_mad_u64_u32 v[4:5], s[0:1], s2, v6, 0
	v_add_co_u32_e64 v2, s[0:1], v90, v2
	v_addc_co_u32_e64 v3, s[0:1], v91, v3, s[0:1]
	v_mad_u64_u32 v[5:6], s[0:1], s3, v6, v[5:6]
	v_add_u32_e32 v8, 0xd2, v128
	v_mad_u64_u32 v[6:7], s[0:1], s2, v8, 0
	global_load_dwordx4 v[64:67], v[0:1], off
	global_load_dwordx4 v[32:35], v[2:3], off
	v_lshlrev_b64 v[0:1], 4, v[4:5]
	v_mov_b32_e32 v2, v7
	v_mad_u64_u32 v[2:3], s[0:1], s3, v8, v[2:3]
	v_add_co_u32_e64 v0, s[0:1], v90, v0
	v_mov_b32_e32 v7, v2
	v_lshlrev_b64 v[2:3], 4, v[6:7]
	v_add_u32_e32 v6, 0xfc, v128
	v_addc_co_u32_e64 v1, s[0:1], v91, v1, s[0:1]
	v_mad_u64_u32 v[4:5], s[0:1], s2, v6, 0
	v_add_co_u32_e64 v2, s[0:1], v90, v2
	v_addc_co_u32_e64 v3, s[0:1], v91, v3, s[0:1]
	v_mad_u64_u32 v[5:6], s[0:1], s3, v6, v[5:6]
	v_add_u32_e32 v8, 0x126, v128
	v_mad_u64_u32 v[6:7], s[0:1], s2, v8, 0
	global_load_dwordx4 v[16:19], v[0:1], off
	global_load_dwordx4 v[12:15], v[2:3], off
	v_lshlrev_b64 v[0:1], 4, v[4:5]
	v_mov_b32_e32 v2, v7
	v_mad_u64_u32 v[2:3], s[0:1], s3, v8, v[2:3]
	v_add_co_u32_e64 v0, s[0:1], v90, v0
	v_add_u32_e32 v5, 0x150, v128
	v_addc_co_u32_e64 v1, s[0:1], v91, v1, s[0:1]
	v_mad_u64_u32 v[20:21], s[0:1], s2, v5, 0
	v_mov_b32_e32 v7, v2
	v_lshlrev_b64 v[2:3], 4, v[6:7]
	v_mov_b32_e32 v4, v21
	v_add_co_u32_e64 v2, s[0:1], v90, v2
	v_addc_co_u32_e64 v3, s[0:1], v91, v3, s[0:1]
	v_mad_u64_u32 v[21:22], s[0:1], s3, v5, v[4:5]
	v_mad_u64_u32 v[22:23], s[0:1], s2, v28, 0
	global_load_dwordx4 v[4:7], v[0:1], off
	global_load_dwordx4 v[8:11], v[2:3], off
	v_lshlrev_b64 v[0:1], 4, v[20:21]
	v_mov_b32_e32 v2, v23
	v_mad_u64_u32 v[2:3], s[0:1], s3, v28, v[2:3]
	v_add_co_u32_e64 v0, s[0:1], v90, v0
	v_mov_b32_e32 v23, v2
	v_lshlrev_b64 v[2:3], 4, v[22:23]
	v_add_u32_e32 v22, 0x1a4, v128
	v_addc_co_u32_e64 v1, s[0:1], v91, v1, s[0:1]
	v_mad_u64_u32 v[20:21], s[0:1], s2, v22, 0
	v_add_co_u32_e64 v2, s[0:1], v90, v2
	v_addc_co_u32_e64 v3, s[0:1], v91, v3, s[0:1]
	v_mad_u64_u32 v[21:22], s[0:1], s3, v22, v[21:22]
	v_mad_u64_u32 v[22:23], s[0:1], s2, v36, 0
	global_load_dwordx4 v[28:31], v[0:1], off
	global_load_dwordx4 v[52:55], v[2:3], off
	v_lshlrev_b64 v[0:1], 4, v[20:21]
	v_mov_b32_e32 v2, v23
	v_mad_u64_u32 v[2:3], s[0:1], s3, v36, v[2:3]
	v_add_u32_e32 v36, 0x1f8, v128
	v_mad_u64_u32 v[20:21], s[0:1], s2, v36, 0
	v_add_co_u32_e64 v0, s[0:1], v90, v0
	v_mov_b32_e32 v23, v2
	v_addc_co_u32_e64 v1, s[0:1], v91, v1, s[0:1]
	v_lshlrev_b64 v[2:3], 4, v[22:23]
	v_mad_u64_u32 v[21:22], s[0:1], s3, v36, v[21:22]
	v_add_co_u32_e64 v2, s[0:1], v90, v2
	v_addc_co_u32_e64 v3, s[0:1], v91, v3, s[0:1]
	global_load_dwordx4 v[68:71], v[0:1], off
	global_load_dwordx4 v[92:95], v[2:3], off
	v_lshlrev_b64 v[0:1], 4, v[20:21]
                                        ; implicit-def: $vgpr20_vgpr21
                                        ; implicit-def: $vgpr36_vgpr37
	v_add_co_u32_e64 v0, s[0:1], v90, v0
	v_addc_co_u32_e64 v1, s[0:1], v91, v1, s[0:1]
	global_load_dwordx4 v[100:103], v[0:1], off
	v_cmp_gt_u32_e64 s[0:1], 3, v128
                                        ; implicit-def: $vgpr0_vgpr1
	s_and_saveexec_b64 s[8:9], s[0:1]
	s_cbranch_execz .LBB0_13
; %bb.12:
	v_add_u32_e32 v20, 39, v128
	v_add_u32_e32 v22, 0x51, v128
	v_mad_u64_u32 v[0:1], s[0:1], s2, v20, 0
	v_mad_u64_u32 v[2:3], s[0:1], s2, v22, 0
	v_add_u32_e32 v45, 0xa5, v128
	v_add_u32_e32 v51, 0xf9, v128
	v_mad_u64_u32 v[20:21], s[0:1], s3, v20, v[1:2]
	v_add_u32_e32 v63, 0x14d, v128
	v_add_u32_e32 v99, 0x1f5, v128
	v_mov_b32_e32 v1, v20
	s_waitcnt vmcnt(6)
	v_mad_u64_u32 v[20:21], s[0:1], s3, v22, v[3:4]
	v_lshlrev_b64 v[0:1], 4, v[0:1]
	v_add_co_u32_e64 v36, s[0:1], v90, v0
	v_mov_b32_e32 v3, v20
	v_addc_co_u32_e64 v37, s[0:1], v91, v1, s[0:1]
	v_lshlrev_b64 v[0:1], 4, v[2:3]
	v_add_u32_e32 v2, 0x7b, v128
	v_mad_u64_u32 v[38:39], s[0:1], s2, v2, 0
	v_add_co_u32_e64 v40, s[0:1], v90, v0
	v_mov_b32_e32 v0, v39
	v_addc_co_u32_e64 v41, s[0:1], v91, v1, s[0:1]
	v_mad_u64_u32 v[42:43], s[0:1], s3, v2, v[0:1]
	v_mad_u64_u32 v[43:44], s[0:1], s2, v45, 0
	v_mov_b32_e32 v39, v42
	global_load_dwordx4 v[0:3], v[36:37], off
	global_load_dwordx4 v[20:23], v[40:41], off
	v_lshlrev_b64 v[36:37], 4, v[38:39]
	v_mov_b32_e32 v38, v44
	v_mad_u64_u32 v[38:39], s[0:1], s3, v45, v[38:39]
	v_add_co_u32_e64 v45, s[0:1], v90, v36
	v_mov_b32_e32 v44, v38
	v_add_u32_e32 v38, 0xcf, v128
	v_addc_co_u32_e64 v46, s[0:1], v91, v37, s[0:1]
	v_mad_u64_u32 v[47:48], s[0:1], s2, v38, 0
	v_lshlrev_b64 v[36:37], 4, v[43:44]
	v_add_co_u32_e64 v49, s[0:1], v90, v36
	v_mov_b32_e32 v36, v48
	v_addc_co_u32_e64 v50, s[0:1], v91, v37, s[0:1]
	v_mad_u64_u32 v[56:57], s[0:1], s3, v38, v[36:37]
	v_mad_u64_u32 v[57:58], s[0:1], s2, v51, 0
	global_load_dwordx4 v[40:43], v[45:46], off
	global_load_dwordx4 v[36:39], v[49:50], off
	v_mov_b32_e32 v48, v56
	v_mov_b32_e32 v46, v58
	v_lshlrev_b64 v[44:45], 4, v[47:48]
	v_mad_u64_u32 v[46:47], s[0:1], s3, v51, v[46:47]
	v_add_co_u32_e64 v59, s[0:1], v90, v44
	v_mov_b32_e32 v58, v46
	v_addc_co_u32_e64 v60, s[0:1], v91, v45, s[0:1]
	v_lshlrev_b64 v[44:45], 4, v[57:58]
	v_add_u32_e32 v46, 0x123, v128
	v_mad_u64_u32 v[56:57], s[0:1], s2, v46, 0
	v_add_co_u32_e64 v61, s[0:1], v90, v44
	v_addc_co_u32_e64 v62, s[0:1], v91, v45, s[0:1]
	v_mad_u64_u32 v[72:73], s[0:1], s2, v63, 0
	v_mov_b32_e32 v44, v57
	v_mad_u64_u32 v[57:58], s[0:1], s3, v46, v[44:45]
	v_mov_b32_e32 v58, v73
	global_load_dwordx4 v[48:51], v[59:60], off
	global_load_dwordx4 v[44:47], v[61:62], off
	v_mad_u64_u32 v[58:59], s[0:1], s3, v63, v[58:59]
	v_lshlrev_b64 v[56:57], 4, v[56:57]
	v_add_co_u32_e64 v74, s[0:1], v90, v56
	v_mov_b32_e32 v73, v58
	v_add_u32_e32 v58, 0x177, v128
	v_addc_co_u32_e64 v75, s[0:1], v91, v57, s[0:1]
	v_lshlrev_b64 v[56:57], 4, v[72:73]
	v_mad_u64_u32 v[72:73], s[0:1], s2, v58, 0
	v_add_co_u32_e64 v76, s[0:1], v90, v56
	v_mov_b32_e32 v56, v73
	v_addc_co_u32_e64 v77, s[0:1], v91, v57, s[0:1]
	v_mad_u64_u32 v[78:79], s[0:1], s3, v58, v[56:57]
	v_add_u32_e32 v79, 0x1a1, v128
	v_mad_u64_u32 v[84:85], s[0:1], s2, v79, 0
	global_load_dwordx4 v[56:59], v[74:75], off
	global_load_dwordx4 v[60:63], v[76:77], off
	v_mov_b32_e32 v73, v78
	v_mov_b32_e32 v74, v85
	v_mad_u64_u32 v[74:75], s[0:1], s3, v79, v[74:75]
	v_lshlrev_b64 v[72:73], 4, v[72:73]
	v_add_co_u32_e64 v86, s[0:1], v90, v72
	v_mov_b32_e32 v85, v74
	v_add_u32_e32 v74, 0x1cb, v128
	v_addc_co_u32_e64 v87, s[0:1], v91, v73, s[0:1]
	v_lshlrev_b64 v[72:73], 4, v[84:85]
	v_mad_u64_u32 v[84:85], s[0:1], s2, v74, 0
	v_add_co_u32_e64 v88, s[0:1], v90, v72
	v_mov_b32_e32 v72, v85
	v_addc_co_u32_e64 v89, s[0:1], v91, v73, s[0:1]
	v_mad_u64_u32 v[96:97], s[0:1], s3, v74, v[72:73]
	v_mad_u64_u32 v[97:98], s[0:1], s2, v99, 0
	global_load_dwordx4 v[72:75], v[86:87], off
	global_load_dwordx4 v[76:79], v[88:89], off
	v_mov_b32_e32 v85, v96
	v_mov_b32_e32 v86, v98
	v_mad_u64_u32 v[86:87], s[0:1], s3, v99, v[86:87]
	v_add_u32_e32 v87, 0x21f, v128
	v_mad_u64_u32 v[88:89], s[0:1], s2, v87, 0
	v_lshlrev_b64 v[84:85], 4, v[84:85]
	v_mov_b32_e32 v98, v86
	v_add_co_u32_e64 v105, s[0:1], v90, v84
	v_mov_b32_e32 v86, v89
	v_addc_co_u32_e64 v106, s[0:1], v91, v85, s[0:1]
	v_mad_u64_u32 v[107:108], s[0:1], s3, v87, v[86:87]
	v_lshlrev_b64 v[84:85], 4, v[97:98]
	v_mov_b32_e32 v89, v107
	v_add_co_u32_e64 v108, s[0:1], v90, v84
	v_lshlrev_b64 v[88:89], 4, v[88:89]
	v_addc_co_u32_e64 v109, s[0:1], v91, v85, s[0:1]
	v_add_co_u32_e64 v88, s[0:1], v90, v88
	v_addc_co_u32_e64 v89, s[0:1], v91, v89, s[0:1]
	global_load_dwordx4 v[96:99], v[105:106], off
	global_load_dwordx4 v[84:87], v[108:109], off
	s_nop 0
	global_load_dwordx4 v[88:91], v[88:89], off
.LBB0_13:
	s_or_b64 exec, exec, s[8:9]
.LBB0_14:
	s_or_b64 exec, exec, s[6:7]
	s_waitcnt vmcnt(11)
	v_add_f64 v[105:106], v[80:81], v[24:25]
	s_waitcnt vmcnt(0)
	v_add_f64 v[121:122], v[82:83], -v[102:103]
	s_mov_b32 s0, 0x4267c47c
	s_mov_b32 s1, 0xbfddbe06
	v_add_f64 v[113:114], v[100:101], v[80:81]
	v_add_f64 v[123:124], v[66:67], -v[94:95]
	s_mov_b32 s6, 0xe00740e9
	s_mov_b32 s26, 0x42a4c3d2
	v_add_f64 v[105:106], v[64:65], v[105:106]
	v_mul_f64 v[136:137], v[121:122], s[0:1]
	s_mov_b32 s7, 0x3fec55a7
	s_mov_b32 s27, 0xbfea55e2
	v_add_f64 v[115:116], v[92:93], v[64:65]
	v_add_f64 v[125:126], v[34:35], -v[70:71]
	v_mul_f64 v[119:120], v[123:124], s[26:27]
	s_mov_b32 s30, 0x1ea71119
	v_add_f64 v[105:106], v[32:33], v[105:106]
	v_fma_f64 v[140:141], v[113:114], s[6:7], v[136:137]
	s_mov_b32 s8, 0x66966769
	s_mov_b32 s31, 0x3fe22d96
	;; [unrolled: 1-line block ×3, first 2 shown]
	v_add_f64 v[111:112], v[68:69], v[32:33]
	v_add_f64 v[134:135], v[18:19], -v[54:55]
	v_mul_f64 v[117:118], v[125:126], s[8:9]
	v_add_f64 v[105:106], v[16:17], v[105:106]
	v_fma_f64 v[144:145], v[115:116], s[30:31], v[119:120]
	v_add_f64 v[140:141], v[24:25], v[140:141]
	s_mov_b32 s16, 0xebaa3ed8
	s_mov_b32 s18, 0x2ef20147
	;; [unrolled: 1-line block ×4, first 2 shown]
	v_add_f64 v[109:110], v[52:53], v[16:17]
	v_add_f64 v[107:108], v[12:13], v[105:106]
	v_add_f64 v[138:139], v[14:15], -v[30:31]
	v_mul_f64 v[153:154], v[134:135], s[18:19]
	v_fma_f64 v[148:149], v[111:112], s[16:17], v[117:118]
	v_add_f64 v[140:141], v[144:145], v[140:141]
	s_mov_b32 s34, 0xb2365da1
	s_mov_b32 s14, 0x24c2f84
	;; [unrolled: 1-line block ×3, first 2 shown]
	v_add_f64 v[107:108], v[4:5], v[107:108]
	s_mov_b32 s15, 0xbfe5384d
	v_add_f64 v[105:106], v[28:29], v[12:13]
	v_add_f64 v[142:143], v[6:7], -v[10:11]
	v_mul_f64 v[155:156], v[138:139], s[14:15]
	v_add_f64 v[140:141], v[148:149], v[140:141]
	v_mul_f64 v[148:149], v[121:122], s[26:27]
	v_mul_f64 v[150:151], v[121:122], s[8:9]
	v_add_f64 v[146:147], v[8:9], v[107:108]
	s_mov_b32 s22, 0xd0032e0c
	s_mov_b32 s24, 0x4bc48dbf
	;; [unrolled: 1-line block ×4, first 2 shown]
	v_add_f64 v[107:108], v[8:9], v[4:5]
	v_mul_f64 v[157:158], v[142:143], s[24:25]
	v_mul_f64 v[159:160], v[123:124], s[18:19]
	v_add_f64 v[144:145], v[28:29], v[146:147]
	v_fma_f64 v[146:147], v[109:110], s[34:35], v[153:154]
	v_mul_f64 v[161:162], v[123:124], s[24:25]
	v_fma_f64 v[163:164], v[105:106], s[22:23], v[155:156]
	v_fma_f64 v[165:166], v[113:114], s[16:17], v[150:151]
	s_mov_b32 s28, 0x93053d00
	s_mov_b32 s29, 0xbfef11f4
	s_mov_b32 s37, 0x3fedeba7
	v_add_f64 v[144:145], v[52:53], v[144:145]
	v_add_f64 v[140:141], v[146:147], v[140:141]
	v_fma_f64 v[146:147], v[113:114], s[30:31], v[148:149]
	s_mov_b32 s36, s18
	v_fma_f64 v[167:168], v[107:108], s[28:29], v[157:158]
	v_fma_f64 v[169:170], v[115:116], s[34:35], v[159:160]
	;; [unrolled: 1-line block ×3, first 2 shown]
	v_mul_f64 v[173:174], v[125:126], s[36:37]
	v_add_f64 v[144:145], v[68:69], v[144:145]
	v_add_f64 v[140:141], v[163:164], v[140:141]
	;; [unrolled: 1-line block ×4, first 2 shown]
	v_mul_f64 v[165:166], v[125:126], s[24:25]
	s_mov_b32 s2, 0xaaaaaaab
	v_mul_hi_u32 v127, v104, s2
	s_movk_i32 s3, 0x68
	v_add_f64 v[144:145], v[92:93], v[144:145]
	v_add_f64 v[140:141], v[167:168], v[140:141]
	;; [unrolled: 1-line block ×4, first 2 shown]
	v_fma_f64 v[167:168], v[111:112], s[28:29], v[165:166]
	v_fma_f64 v[169:170], v[111:112], s[34:35], v[173:174]
	v_mul_f64 v[171:172], v[121:122], s[18:19]
	v_lshrrev_b32_e32 v127, 1, v127
	v_add_f64 v[144:145], v[100:101], v[144:145]
	v_lshl_add_u32 v127, v127, 1, v127
	v_sub_u32_e32 v104, v104, v127
	v_mad_u32_u24 v129, v128, s3, 0
	v_mul_u32_u24_e32 v127, 0x222, v104
	v_lshl_add_u32 v152, v127, 3, v129
	s_mov_b32 s39, 0x3fe5384d
	s_mov_b32 s38, s14
	;; [unrolled: 1-line block ×4, first 2 shown]
	v_mul_f64 v[175:176], v[134:135], s[38:39]
	v_mul_f64 v[177:178], v[134:135], s[40:41]
	ds_write2_b64 v152, v[144:145], v[140:141] offset1:1
	v_add_f64 v[140:141], v[167:168], v[146:147]
	v_add_f64 v[144:145], v[169:170], v[163:164]
	v_fma_f64 v[146:147], v[113:114], s[34:35], v[171:172]
	v_mul_f64 v[163:164], v[123:124], s[38:39]
	v_mul_f64 v[167:168], v[121:122], s[14:15]
	s_mov_b32 s43, 0x3fefc445
	s_mov_b32 s42, s8
	v_fma_f64 v[169:170], v[109:110], s[22:23], v[175:176]
	v_fma_f64 v[179:180], v[109:110], s[6:7], v[177:178]
	v_mul_f64 v[181:182], v[138:139], s[42:43]
	v_add_f64 v[146:147], v[24:25], v[146:147]
	v_fma_f64 v[183:184], v[115:116], s[22:23], v[163:164]
	v_fma_f64 v[185:186], v[113:114], s[22:23], v[167:168]
	v_mul_f64 v[187:188], v[123:124], s[42:43]
	v_mul_f64 v[189:190], v[125:126], s[40:41]
	v_add_f64 v[140:141], v[169:170], v[140:141]
	v_add_f64 v[144:145], v[179:180], v[144:145]
	v_fma_f64 v[169:170], v[105:106], s[16:17], v[181:182]
	v_mul_f64 v[179:180], v[138:139], s[26:27]
	v_add_f64 v[146:147], v[183:184], v[146:147]
	v_add_f64 v[183:184], v[24:25], v[185:186]
	v_fma_f64 v[185:186], v[115:116], s[16:17], v[187:188]
	v_fma_f64 v[191:192], v[111:112], s[6:7], v[189:190]
	v_mul_f64 v[193:194], v[125:126], s[26:27]
	v_mul_f64 v[195:196], v[134:135], s[8:9]
	s_mov_b32 s45, 0x3fcea1e5
	s_mov_b32 s44, s24
	v_add_f64 v[140:141], v[169:170], v[140:141]
	v_fma_f64 v[169:170], v[105:106], s[30:31], v[179:180]
	v_mul_f64 v[197:198], v[142:143], s[40:41]
	v_mul_f64 v[199:200], v[142:143], s[14:15]
	v_add_f64 v[183:184], v[185:186], v[183:184]
	v_add_f64 v[146:147], v[191:192], v[146:147]
	v_fma_f64 v[185:186], v[111:112], s[30:31], v[193:194]
	v_fma_f64 v[191:192], v[109:110], s[16:17], v[195:196]
	v_mul_f64 v[201:202], v[134:135], s[44:45]
	v_mul_f64 v[203:204], v[138:139], s[44:45]
	;; [unrolled: 1-line block ×3, first 2 shown]
	v_add_f64 v[144:145], v[169:170], v[144:145]
	v_fma_f64 v[169:170], v[107:108], s[6:7], v[197:198]
	v_fma_f64 v[205:206], v[107:108], s[22:23], v[199:200]
	v_add_f64 v[183:184], v[185:186], v[183:184]
	v_add_f64 v[146:147], v[191:192], v[146:147]
	v_fma_f64 v[185:186], v[109:110], s[28:29], v[201:202]
	v_fma_f64 v[191:192], v[105:106], s[28:29], v[203:204]
	v_mul_f64 v[207:208], v[138:139], s[40:41]
	v_fma_f64 v[209:210], v[113:114], s[28:29], v[121:122]
	v_mul_f64 v[123:124], v[123:124], s[40:41]
	v_fma_f64 v[121:122], v[113:114], s[28:29], -v[121:122]
	v_add_f64 v[169:170], v[169:170], v[140:141]
	v_add_f64 v[205:206], v[205:206], v[144:145]
	;; [unrolled: 1-line block ×4, first 2 shown]
	v_fma_f64 v[146:147], v[105:106], s[6:7], v[207:208]
	v_add_f64 v[183:184], v[24:25], v[209:210]
	v_fma_f64 v[185:186], v[115:116], s[6:7], v[123:124]
	v_mul_f64 v[125:126], v[125:126], s[14:15]
	v_add_f64 v[121:122], v[24:25], v[121:122]
	v_fma_f64 v[123:124], v[115:116], s[6:7], -v[123:124]
	s_mov_b32 s47, 0x3fea55e2
	s_mov_b32 s46, s26
	v_add_f64 v[140:141], v[146:147], v[140:141]
	v_mul_f64 v[134:135], v[134:135], s[46:47]
	v_add_f64 v[146:147], v[185:186], v[183:184]
	v_fma_f64 v[183:184], v[111:112], s[22:23], v[125:126]
	v_fma_f64 v[167:168], v[113:114], s[22:23], -v[167:168]
	v_add_f64 v[121:122], v[123:124], v[121:122]
	v_fma_f64 v[123:124], v[111:112], s[22:23], -v[125:126]
	v_fma_f64 v[125:126], v[113:114], s[34:35], -v[171:172]
	v_mul_f64 v[185:186], v[142:143], s[18:19]
	v_mul_f64 v[138:139], v[138:139], s[18:19]
	;; [unrolled: 1-line block ×3, first 2 shown]
	v_add_f64 v[146:147], v[183:184], v[146:147]
	v_fma_f64 v[183:184], v[109:110], s[30:31], v[134:135]
	v_fma_f64 v[134:135], v[109:110], s[30:31], -v[134:135]
	v_add_f64 v[121:122], v[123:124], v[121:122]
	v_add_f64 v[123:124], v[24:25], v[125:126]
	v_fma_f64 v[125:126], v[115:116], s[22:23], -v[163:164]
	v_add_f64 v[163:164], v[24:25], v[167:168]
	v_fma_f64 v[167:168], v[115:116], s[16:17], -v[187:188]
	v_fma_f64 v[187:188], v[107:108], s[34:35], v[185:186]
	v_add_f64 v[146:147], v[183:184], v[146:147]
	v_fma_f64 v[183:184], v[105:106], s[34:35], v[138:139]
	v_add_f64 v[121:122], v[134:135], v[121:122]
	v_fma_f64 v[138:139], v[105:106], s[34:35], -v[138:139]
	v_add_f64 v[123:124], v[125:126], v[123:124]
	v_fma_f64 v[125:126], v[111:112], s[6:7], -v[189:190]
	;; [unrolled: 2-line block ×3, first 2 shown]
	v_mul_f64 v[142:143], v[142:143], s[42:43]
	v_add_f64 v[146:147], v[183:184], v[146:147]
	v_add_f64 v[183:184], v[187:188], v[140:141]
	v_fma_f64 v[140:141], v[109:110], s[28:29], -v[201:202]
	v_fma_f64 v[171:172], v[107:108], s[30:31], v[191:192]
	v_add_f64 v[123:124], v[125:126], v[123:124]
	v_fma_f64 v[125:126], v[109:110], s[16:17], -v[195:196]
	v_add_f64 v[134:135], v[163:164], v[134:135]
	v_add_f64 v[163:164], v[138:139], v[121:122]
	;; [unrolled: 1-line block ×3, first 2 shown]
	v_fma_f64 v[167:168], v[107:108], s[16:17], v[142:143]
	v_fma_f64 v[187:188], v[107:108], s[16:17], -v[142:143]
	v_fma_f64 v[142:143], v[105:106], s[6:7], -v[207:208]
	v_add_f64 v[171:172], v[171:172], v[144:145]
	v_add_f64 v[123:124], v[125:126], v[123:124]
	v_fma_f64 v[125:126], v[105:106], s[28:29], -v[203:204]
	v_add_f64 v[134:135], v[140:141], v[134:135]
	v_add_f64 v[138:139], v[40:41], v[138:139]
	v_fma_f64 v[121:122], v[113:114], s[30:31], -v[148:149]
	v_fma_f64 v[140:141], v[113:114], s[16:17], -v[150:151]
	;; [unrolled: 1-line block ×3, first 2 shown]
	v_add_f64 v[148:149], v[88:89], v[20:21]
	v_add_f64 v[150:151], v[84:85], v[40:41]
	;; [unrolled: 1-line block ×3, first 2 shown]
	v_fma_f64 v[123:124], v[115:116], s[28:29], -v[161:162]
	v_add_f64 v[161:162], v[142:143], v[134:135]
	v_add_f64 v[134:135], v[36:37], v[138:139]
	;; [unrolled: 1-line block ×4, first 2 shown]
	v_fma_f64 v[140:141], v[111:112], s[28:29], -v[165:166]
	v_add_f64 v[142:143], v[22:23], -v[90:91]
	v_fma_f64 v[136:137], v[113:114], s[6:7], -v[136:137]
	v_add_f64 v[167:168], v[167:168], v[146:147]
	v_mul_f64 v[113:114], v[150:151], s[30:31]
	v_add_f64 v[134:135], v[48:49], v[134:135]
	v_add_f64 v[138:139], v[144:145], v[121:122]
	v_mul_f64 v[121:122], v[148:149], s[6:7]
	v_add_f64 v[125:126], v[123:124], v[125:126]
	v_fma_f64 v[144:145], v[111:112], s[34:35], -v[173:174]
	v_add_f64 v[123:124], v[42:43], -v[86:87]
	v_fma_f64 v[146:147], v[109:110], s[22:23], -v[175:176]
	v_fma_f64 v[173:174], v[115:116], s[30:31], -v[119:120]
	v_add_f64 v[134:135], v[44:45], v[134:135]
	v_add_f64 v[138:139], v[140:141], v[138:139]
	v_fma_f64 v[140:141], v[142:143], s[0:1], v[121:122]
	v_add_f64 v[24:25], v[24:25], v[136:137]
	v_add_f64 v[144:145], v[144:145], v[125:126]
	;; [unrolled: 1-line block ×3, first 2 shown]
	v_add_f64 v[115:116], v[38:39], -v[98:99]
	v_fma_f64 v[175:176], v[109:110], s[6:7], -v[177:178]
	v_add_f64 v[134:135], v[56:57], v[134:135]
	v_add_f64 v[146:147], v[146:147], v[138:139]
	;; [unrolled: 1-line block ×3, first 2 shown]
	v_fma_f64 v[140:141], v[123:124], s[26:27], v[113:114]
	v_add_f64 v[138:139], v[76:77], v[48:49]
	v_mul_f64 v[119:120], v[125:126], s[16:17]
	v_add_f64 v[24:25], v[173:174], v[24:25]
	v_fma_f64 v[173:174], v[111:112], s[16:17], -v[117:118]
	v_add_f64 v[134:135], v[60:61], v[134:135]
	v_add_f64 v[117:118], v[50:51], -v[78:79]
	v_add_f64 v[175:176], v[175:176], v[144:145]
	v_add_f64 v[136:137], v[140:141], v[136:137]
	v_mul_f64 v[111:112], v[138:139], s[34:35]
	v_fma_f64 v[140:141], v[115:116], s[8:9], v[119:120]
	v_add_f64 v[144:145], v[72:73], v[44:45]
	v_fma_f64 v[177:178], v[105:106], s[16:17], -v[181:182]
	v_add_f64 v[24:25], v[173:174], v[24:25]
	v_add_f64 v[173:174], v[72:73], v[134:135]
	v_fma_f64 v[153:154], v[109:110], s[34:35], -v[153:154]
	v_add_f64 v[134:135], v[46:47], -v[74:75]
	v_fma_f64 v[179:180], v[105:106], s[30:31], -v[179:180]
	v_add_f64 v[136:137], v[140:141], v[136:137]
	v_fma_f64 v[140:141], v[117:118], s[18:19], v[111:112]
	v_mul_f64 v[109:110], v[144:145], s[22:23]
	v_add_f64 v[177:178], v[177:178], v[146:147]
	v_add_f64 v[146:147], v[60:61], v[56:57]
	;; [unrolled: 1-line block ×4, first 2 shown]
	v_fma_f64 v[104:105], v[105:106], s[22:23], -v[155:156]
	v_fma_f64 v[189:190], v[107:108], s[30:31], -v[191:192]
	v_add_f64 v[153:154], v[140:141], v[136:137]
	v_fma_f64 v[155:156], v[134:135], s[14:15], v[109:110]
	v_add_f64 v[140:141], v[58:59], -v[62:63]
	v_mul_f64 v[136:137], v[146:147], s[28:29]
	v_add_f64 v[173:174], v[96:97], v[173:174]
	v_fma_f64 v[165:166], v[107:108], s[34:35], -v[185:186]
	v_add_f64 v[175:176], v[179:180], v[175:176]
	v_fma_f64 v[179:180], v[107:108], s[6:7], -v[197:198]
	v_fma_f64 v[181:182], v[107:108], s[22:23], -v[199:200]
	v_add_f64 v[24:25], v[104:105], v[24:25]
	v_fma_f64 v[104:105], v[107:108], s[28:29], -v[157:158]
	v_add_f64 v[106:107], v[155:156], v[153:154]
	v_fma_f64 v[153:154], v[140:141], s[24:25], v[136:137]
	v_add_f64 v[155:156], v[84:85], v[173:174]
	v_add_f64 v[157:158], v[187:188], v[163:164]
	;; [unrolled: 1-line block ×9, first 2 shown]
	v_cmp_gt_u32_e64 s[2:3], 3, v128
	ds_write2_b64 v152, v[169:170], v[205:206] offset0:2 offset1:3
	ds_write2_b64 v152, v[171:172], v[183:184] offset0:4 offset1:5
	;; [unrolled: 1-line block ×5, first 2 shown]
	ds_write_b64 v152, v[104:105] offset:96
	s_and_saveexec_b64 s[48:49], s[2:3]
	s_cbranch_execz .LBB0_16
; %bb.15:
	v_mul_f64 v[153:154], v[148:149], s[28:29]
	v_mul_f64 v[163:164], v[148:149], s[22:23]
	;; [unrolled: 1-line block ×8, first 2 shown]
	v_fma_f64 v[169:170], v[142:143], s[44:45], v[153:154]
	v_fma_f64 v[153:154], v[142:143], s[24:25], v[153:154]
	;; [unrolled: 1-line block ×8, first 2 shown]
	v_add_f64 v[169:170], v[0:1], v[169:170]
	v_add_f64 v[153:154], v[0:1], v[153:154]
	;; [unrolled: 1-line block ×3, first 2 shown]
	v_fma_f64 v[191:192], v[117:118], s[26:27], v[173:174]
	v_fma_f64 v[173:174], v[117:118], s[46:47], v[173:174]
	;; [unrolled: 1-line block ×3, first 2 shown]
	v_mul_f64 v[165:166], v[146:147], s[16:17]
	v_mul_f64 v[187:188], v[146:147], s[34:35]
	v_add_f64 v[169:170], v[181:182], v[169:170]
	v_add_f64 v[153:154], v[167:168], v[153:154]
	v_mul_f64 v[167:168], v[138:139], s[28:29]
	v_fma_f64 v[181:182], v[115:116], s[46:47], v[183:184]
	v_add_f64 v[177:178], v[185:186], v[177:178]
	v_mul_f64 v[185:186], v[144:145], s[6:7]
	v_add_f64 v[163:164], v[0:1], v[163:164]
	v_mul_f64 v[193:194], v[125:126], s[34:35]
	v_add_f64 v[169:170], v[189:190], v[169:170]
	v_add_f64 v[153:154], v[179:180], v[153:154]
	v_fma_f64 v[179:180], v[117:118], s[24:25], v[167:168]
	v_mul_f64 v[155:156], v[142:143], s[0:1]
	v_add_f64 v[177:178], v[181:182], v[177:178]
	v_fma_f64 v[181:182], v[134:135], s[36:37], v[171:172]
	v_fma_f64 v[171:172], v[134:135], s[18:19], v[171:172]
	;; [unrolled: 1-line block ×3, first 2 shown]
	v_add_f64 v[169:170], v[191:192], v[169:170]
	v_add_f64 v[153:154], v[173:174], v[153:154]
	v_fma_f64 v[173:174], v[123:124], s[42:43], v[175:176]
	v_mul_f64 v[157:158], v[123:124], s[26:27]
	v_add_f64 v[175:176], v[179:180], v[177:178]
	v_fma_f64 v[177:178], v[140:141], s[8:9], v[165:166]
	v_fma_f64 v[165:166], v[140:141], s[42:43], v[165:166]
	;; [unrolled: 1-line block ×3, first 2 shown]
	v_add_f64 v[169:170], v[181:182], v[169:170]
	v_add_f64 v[153:154], v[171:172], v[153:154]
	v_fma_f64 v[171:172], v[115:116], s[26:27], v[183:184]
	v_add_f64 v[163:164], v[173:174], v[163:164]
	v_add_f64 v[173:174], v[189:190], v[175:176]
	v_mul_f64 v[189:190], v[125:126], s[6:7]
	v_add_f64 v[121:122], v[121:122], -v[155:156]
	v_mul_f64 v[125:126], v[125:126], s[28:29]
	v_add_f64 v[169:170], v[177:178], v[169:170]
	v_mul_f64 v[177:178], v[148:149], s[34:35]
	v_add_f64 v[153:154], v[165:166], v[153:154]
	v_fma_f64 v[165:166], v[117:118], s[44:45], v[167:168]
	v_add_f64 v[163:164], v[171:172], v[163:164]
	v_mul_f64 v[171:172], v[148:149], s[16:17]
	v_add_f64 v[167:168], v[179:180], v[173:174]
	v_fma_f64 v[173:174], v[140:141], s[18:19], v[187:188]
	v_mul_f64 v[179:180], v[150:151], s[22:23]
	v_fma_f64 v[183:184], v[142:143], s[36:37], v[177:178]
	v_fma_f64 v[177:178], v[142:143], s[18:19], v[177:178]
	;; [unrolled: 1-line block ×3, first 2 shown]
	v_add_f64 v[163:164], v[165:166], v[163:164]
	v_mul_f64 v[165:166], v[150:151], s[28:29]
	v_fma_f64 v[187:188], v[142:143], s[42:43], v[171:172]
	v_mul_f64 v[148:149], v[148:149], s[30:31]
	v_fma_f64 v[191:192], v[123:124], s[14:15], v[179:180]
	v_add_f64 v[183:184], v[0:1], v[183:184]
	v_fma_f64 v[179:180], v[123:124], s[38:39], v[179:180]
	v_add_f64 v[177:178], v[0:1], v[177:178]
	v_fma_f64 v[171:172], v[142:143], s[8:9], v[171:172]
	v_fma_f64 v[195:196], v[123:124], s[44:45], v[165:166]
	v_add_f64 v[187:188], v[0:1], v[187:188]
	v_mul_f64 v[150:151], v[150:151], s[34:35]
	v_mul_f64 v[159:160], v[115:116], s[8:9]
	v_add_f64 v[183:184], v[191:192], v[183:184]
	v_fma_f64 v[191:192], v[115:116], s[18:19], v[193:194]
	v_add_f64 v[177:178], v[179:180], v[177:178]
	v_mul_f64 v[179:180], v[138:139], s[6:7]
	v_add_f64 v[155:156], v[0:1], v[171:172]
	v_add_f64 v[187:188], v[195:196], v[187:188]
	v_add_f64 v[113:114], v[113:114], -v[157:158]
	v_mul_f64 v[197:198], v[138:139], s[16:17]
	v_add_f64 v[183:184], v[199:200], v[183:184]
	v_fma_f64 v[189:190], v[115:116], s[40:41], v[189:190]
	v_fma_f64 v[193:194], v[115:116], s[36:37], v[193:194]
	;; [unrolled: 1-line block ×3, first 2 shown]
	v_mul_f64 v[138:139], v[138:139], s[22:23]
	v_add_f64 v[187:188], v[191:192], v[187:188]
	v_mul_f64 v[161:162], v[117:118], s[18:19]
	v_add_f64 v[119:120], v[119:120], -v[159:160]
	v_fma_f64 v[201:202], v[117:118], s[42:43], v[197:198]
	v_fma_f64 v[197:198], v[117:118], s[8:9], v[197:198]
	v_add_f64 v[177:178], v[189:190], v[177:178]
	v_mul_f64 v[189:190], v[144:145], s[30:31]
	v_fma_f64 v[179:180], v[117:118], s[40:41], v[179:180]
	v_add_f64 v[187:188], v[199:200], v[187:188]
	v_fma_f64 v[199:200], v[142:143], s[26:27], v[148:149]
	v_fma_f64 v[142:143], v[142:143], s[46:47], v[148:149]
	;; [unrolled: 1-line block ×5, first 2 shown]
	v_mul_f64 v[195:196], v[144:145], s[28:29]
	v_mul_f64 v[175:176], v[134:135], s[14:15]
	v_add_f64 v[111:112], v[111:112], -v[161:162]
	v_add_f64 v[171:172], v[0:1], v[199:200]
	v_add_f64 v[142:143], v[0:1], v[142:143]
	;; [unrolled: 1-line block ×4, first 2 shown]
	v_fma_f64 v[148:149], v[115:116], s[24:25], v[125:126]
	v_fma_f64 v[115:116], v[115:116], s[44:45], v[125:126]
	;; [unrolled: 1-line block ×4, first 2 shown]
	v_add_f64 v[150:151], v[165:166], v[171:172]
	v_add_f64 v[123:124], v[123:124], v[142:143]
	;; [unrolled: 1-line block ×4, first 2 shown]
	v_mul_f64 v[121:122], v[144:145], s[16:17]
	v_add_f64 v[183:184], v[201:202], v[183:184]
	v_add_f64 v[177:178], v[197:198], v[177:178]
	v_mul_f64 v[197:198], v[146:147], s[22:23]
	v_add_f64 v[142:143], v[148:149], v[150:151]
	v_add_f64 v[115:116], v[115:116], v[123:124]
	v_add_f64 v[0:1], v[119:120], v[0:1]
	v_fma_f64 v[201:202], v[134:135], s[46:47], v[189:190]
	v_fma_f64 v[189:190], v[134:135], s[26:27], v[189:190]
	v_add_f64 v[113:114], v[179:180], v[113:114]
	v_mul_f64 v[119:120], v[146:147], s[6:7]
	v_fma_f64 v[123:124], v[134:135], s[42:43], v[121:122]
	v_add_f64 v[125:126], v[125:126], v[142:143]
	v_fma_f64 v[185:186], v[134:135], s[40:41], v[185:186]
	v_mul_f64 v[191:192], v[146:147], s[30:31]
	v_fma_f64 v[203:204], v[134:135], s[24:25], v[195:196]
	v_fma_f64 v[195:196], v[134:135], s[44:45], v[195:196]
	;; [unrolled: 1-line block ×3, first 2 shown]
	v_add_f64 v[115:116], v[117:118], v[115:116]
	v_mul_f64 v[181:182], v[140:141], s[24:25]
	v_add_f64 v[108:109], v[109:110], -v[175:176]
	v_add_f64 v[0:1], v[111:112], v[0:1]
	v_fma_f64 v[110:111], v[140:141], s[14:15], v[197:198]
	v_add_f64 v[112:113], v[189:190], v[113:114]
	v_fma_f64 v[117:118], v[140:141], s[40:41], v[119:120]
	v_add_f64 v[123:124], v[123:124], v[125:126]
	v_add_f64 v[163:164], v[185:186], v[163:164]
	v_fma_f64 v[185:186], v[140:141], s[26:27], v[191:192]
	v_fma_f64 v[191:192], v[140:141], s[46:47], v[191:192]
	v_add_f64 v[177:178], v[195:196], v[177:178]
	v_add_f64 v[183:184], v[203:204], v[183:184]
	v_fma_f64 v[195:196], v[140:141], s[38:39], v[197:198]
	v_add_f64 v[187:188], v[201:202], v[187:188]
	v_fma_f64 v[119:120], v[140:141], s[0:1], v[119:120]
	v_add_f64 v[114:115], v[121:122], v[115:116]
	v_add_f64 v[121:122], v[136:137], -v[181:182]
	v_add_f64 v[0:1], v[108:109], v[0:1]
	v_add_f64 v[110:111], v[110:111], v[112:113]
	;; [unrolled: 1-line block ×9, first 2 shown]
	v_add_u32_e32 v118, 0xfd8, v152
	ds_write2_b64 v118, v[106:107], v[24:25] offset1:1
	v_add_u32_e32 v118, 0xfe8, v152
	ds_write2_b64 v118, v[112:113], v[110:111] offset1:1
	;; [unrolled: 2-line block ×6, first 2 shown]
	ds_write_b64 v152, v[0:1] offset:4152
.LBB0_16:
	s_or_b64 exec, exec, s[48:49]
	v_lshlrev_b32_e32 v129, 3, v127
	v_lshlrev_b32_e32 v0, 3, v128
	v_add3_u32 v139, 0, v0, v129
	v_add3_u32 v138, 0, v129, v0
	v_add_u32_e32 v1, 0x800, v139
	v_add_u32_e32 v0, 0x400, v139
	s_waitcnt lgkmcnt(0)
	s_barrier
	ds_read2_b64 v[108:111], v139 offset0:117 offset1:182
	ds_read2_b64 v[116:119], v1 offset0:43 offset1:108
	;; [unrolled: 1-line block ×5, first 2 shown]
	ds_read_b64 v[134:135], v138
	ds_read_b64 v[136:137], v139 offset:3848
	v_cmp_gt_u32_e64 s[0:1], 26, v128
	s_and_saveexec_b64 s[6:7], s[0:1]
	s_cbranch_execz .LBB0_18
; %bb.17:
	ds_read2_b64 v[104:107], v0 offset0:28 offset1:210
	ds_read_b64 v[24:25], v139 offset:4160
.LBB0_18:
	s_or_b64 exec, exec, s[6:7]
	v_add_f64 v[0:1], v[82:83], v[26:27]
	v_add_f64 v[80:81], v[80:81], -v[100:101]
	v_add_f64 v[82:83], v[102:103], v[82:83]
	v_add_f64 v[64:65], v[64:65], -v[92:93]
	s_mov_b32 s6, 0x1ea71119
	s_mov_b32 s34, 0x66966769
	;; [unrolled: 1-line block ×4, first 2 shown]
	v_add_f64 v[0:1], v[66:67], v[0:1]
	v_mul_f64 v[100:101], v[80:81], s[26:27]
	s_mov_b32 s35, 0xbfefc445
	s_mov_b32 s23, 0xbfedeba7
	v_add_f64 v[66:67], v[94:95], v[66:67]
	v_mul_f64 v[140:141], v[80:81], s[34:35]
	v_mul_f64 v[142:143], v[80:81], s[22:23]
	;; [unrolled: 1-line block ×3, first 2 shown]
	v_add_f64 v[0:1], v[34:35], v[0:1]
	v_fma_f64 v[159:160], v[82:83], s[6:7], -v[100:101]
	v_fma_f64 v[100:101], v[82:83], s[6:7], v[100:101]
	s_mov_b32 s48, 0x4267c47c
	s_mov_b32 s8, 0xebaa3ed8
	;; [unrolled: 1-line block ×5, first 2 shown]
	v_add_f64 v[0:1], v[18:19], v[0:1]
	s_mov_b32 s49, 0xbfddbe06
	s_mov_b32 s9, 0x3fbedb7d
	;; [unrolled: 1-line block ×6, first 2 shown]
	v_mul_f64 v[92:93], v[80:81], s[48:49]
	v_add_f64 v[0:1], v[14:15], v[0:1]
	v_mul_f64 v[144:145], v[80:81], s[24:25]
	v_mul_f64 v[80:81], v[80:81], s[40:41]
	;; [unrolled: 1-line block ×4, first 2 shown]
	v_fma_f64 v[161:162], v[82:83], s[8:9], -v[140:141]
	v_fma_f64 v[140:141], v[82:83], s[8:9], v[140:141]
	v_fma_f64 v[163:164], v[82:83], s[16:17], -v[142:143]
	v_add_f64 v[0:1], v[6:7], v[0:1]
	v_fma_f64 v[169:170], v[66:67], s[16:17], -v[148:149]
	v_fma_f64 v[148:149], v[66:67], s[16:17], v[148:149]
	v_add_f64 v[100:101], v[26:27], v[100:101]
	s_mov_b32 s14, 0xe00740e9
	s_mov_b32 s18, 0xd0032e0c
	;; [unrolled: 1-line block ×4, first 2 shown]
	v_add_f64 v[0:1], v[10:11], v[0:1]
	s_mov_b32 s19, 0xbfe7f3cc
	s_mov_b32 s31, 0xbfef11f4
	s_mov_b32 s29, 0x3fefc445
	s_mov_b32 s28, s34
	s_mov_b32 s37, 0x3fddbe06
	s_mov_b32 s36, s48
	v_mul_f64 v[146:147], v[64:65], s[26:27]
	v_add_f64 v[0:1], v[30:31], v[0:1]
	v_mul_f64 v[155:156], v[64:65], s[28:29]
	v_fma_f64 v[157:158], v[82:83], s[14:15], -v[92:93]
	v_fma_f64 v[92:93], v[82:83], s[14:15], v[92:93]
	v_fma_f64 v[142:143], v[82:83], s[16:17], v[142:143]
	v_fma_f64 v[165:166], v[82:83], s[18:19], -v[144:145]
	v_fma_f64 v[144:145], v[82:83], s[18:19], v[144:145]
	v_fma_f64 v[167:168], v[82:83], s[30:31], -v[80:81]
	v_add_f64 v[0:1], v[54:55], v[0:1]
	v_fma_f64 v[80:81], v[82:83], s[30:31], v[80:81]
	v_add_f64 v[140:141], v[26:27], v[140:141]
	v_add_f64 v[163:164], v[26:27], v[163:164]
	v_add_f64 v[100:101], v[148:149], v[100:101]
	v_fma_f64 v[148:149], v[66:67], s[18:19], -v[153:154]
	v_add_f64 v[32:33], v[32:33], -v[68:69]
	v_mul_f64 v[64:65], v[64:65], s[36:37]
	v_add_f64 v[0:1], v[70:71], v[0:1]
	v_fma_f64 v[82:83], v[66:67], s[6:7], -v[146:147]
	v_fma_f64 v[146:147], v[66:67], s[6:7], v[146:147]
	v_add_f64 v[157:158], v[26:27], v[157:158]
	v_add_f64 v[92:93], v[26:27], v[92:93]
	;; [unrolled: 1-line block ×10, first 2 shown]
	v_fma_f64 v[68:69], v[66:67], s[18:19], v[153:154]
	v_fma_f64 v[153:154], v[66:67], s[8:9], v[155:156]
	v_add_f64 v[34:35], v[70:71], v[34:35]
	v_add_f64 v[102:103], v[102:103], v[0:1]
	v_fma_f64 v[0:1], v[66:67], s[30:31], v[150:151]
	v_mul_f64 v[70:71], v[32:33], s[34:35]
	s_mov_b32 s47, 0x3fedeba7
	s_mov_b32 s46, s22
	v_fma_f64 v[171:172], v[66:67], s[30:31], -v[150:151]
	v_add_f64 v[80:81], v[82:83], v[157:158]
	v_add_f64 v[82:83], v[146:147], v[92:93]
	v_fma_f64 v[150:151], v[66:67], s[8:9], -v[155:156]
	v_add_f64 v[0:1], v[0:1], v[140:141]
	v_add_f64 v[140:141], v[148:149], v[163:164]
	v_fma_f64 v[148:149], v[66:67], s[14:15], -v[64:65]
	v_fma_f64 v[64:65], v[66:67], s[14:15], v[64:65]
	v_add_f64 v[144:145], v[153:154], v[144:145]
	v_fma_f64 v[66:67], v[34:35], s[8:9], -v[70:71]
	v_fma_f64 v[70:71], v[34:35], s[8:9], v[70:71]
	v_mul_f64 v[153:154], v[32:33], s[46:47]
	v_add_f64 v[146:147], v[171:172], v[161:162]
	v_add_f64 v[68:69], v[68:69], v[142:143]
	;; [unrolled: 1-line block ×4, first 2 shown]
	v_mul_f64 v[64:65], v[32:33], s[36:37]
	v_mul_f64 v[150:151], v[32:33], s[40:41]
	v_add_f64 v[66:67], v[66:67], v[80:81]
	v_add_f64 v[70:71], v[70:71], v[82:83]
	v_fma_f64 v[80:81], v[34:35], s[16:17], -v[153:154]
	v_mul_f64 v[82:83], v[32:33], s[26:27]
	v_add_f64 v[16:17], v[16:17], -v[52:53]
	v_add_f64 v[92:93], v[169:170], v[159:160]
	v_fma_f64 v[52:53], v[34:35], s[14:15], v[64:65]
	v_add_f64 v[94:95], v[148:149], v[94:95]
	v_fma_f64 v[148:149], v[34:35], s[30:31], -v[150:151]
	v_fma_f64 v[150:151], v[34:35], s[30:31], v[150:151]
	v_fma_f64 v[155:156], v[34:35], s[14:15], -v[64:65]
	v_add_f64 v[64:65], v[80:81], v[146:147]
	v_fma_f64 v[80:81], v[34:35], s[6:7], -v[82:83]
	v_mul_f64 v[32:33], v[32:33], s[24:25]
	v_add_f64 v[18:19], v[54:55], v[18:19]
	v_mul_f64 v[54:55], v[16:17], s[22:23]
	v_add_f64 v[52:53], v[52:53], v[68:69]
	v_mul_f64 v[68:69], v[16:17], s[38:39]
	v_fma_f64 v[153:154], v[34:35], s[16:17], v[153:154]
	v_add_f64 v[92:93], v[148:149], v[92:93]
	v_add_f64 v[100:101], v[150:151], v[100:101]
	;; [unrolled: 1-line block ×3, first 2 shown]
	v_mul_f64 v[142:143], v[16:17], s[36:37]
	v_fma_f64 v[82:83], v[34:35], s[6:7], v[82:83]
	v_fma_f64 v[146:147], v[34:35], s[18:19], -v[32:33]
	v_fma_f64 v[32:33], v[34:35], s[18:19], v[32:33]
	v_fma_f64 v[34:35], v[18:19], s[16:17], -v[54:55]
	;; [unrolled: 2-line block ×3, first 2 shown]
	v_fma_f64 v[68:69], v[18:19], s[18:19], v[68:69]
	s_mov_b32 s44, s40
	s_mov_b32 s43, 0x3fea55e2
	;; [unrolled: 1-line block ×3, first 2 shown]
	v_add_f64 v[0:1], v[153:154], v[0:1]
	v_add_f64 v[26:27], v[32:33], v[26:27]
	;; [unrolled: 1-line block ×6, first 2 shown]
	v_mul_f64 v[68:69], v[16:17], s[34:35]
	v_mul_f64 v[70:71], v[16:17], s[44:45]
	v_fma_f64 v[92:93], v[18:19], s[14:15], v[142:143]
	v_add_f64 v[12:13], v[12:13], -v[28:29]
	v_mul_f64 v[16:17], v[16:17], s[42:43]
	v_add_f64 v[82:83], v[82:83], v[144:145]
	v_add_f64 v[94:95], v[146:147], v[94:95]
	;; [unrolled: 1-line block ×3, first 2 shown]
	v_fma_f64 v[28:29], v[18:19], s[8:9], -v[68:69]
	v_fma_f64 v[68:69], v[18:19], s[8:9], v[68:69]
	v_fma_f64 v[100:101], v[18:19], s[30:31], -v[70:71]
	v_mul_f64 v[30:31], v[12:13], s[24:25]
	v_fma_f64 v[70:71], v[18:19], s[30:31], v[70:71]
	v_add_f64 v[0:1], v[92:93], v[0:1]
	v_fma_f64 v[92:93], v[18:19], s[6:7], -v[16:17]
	v_fma_f64 v[150:151], v[18:19], s[14:15], -v[142:143]
	v_fma_f64 v[16:17], v[18:19], s[6:7], v[16:17]
	v_add_f64 v[52:53], v[68:69], v[52:53]
	v_add_f64 v[18:19], v[100:101], v[80:81]
	v_fma_f64 v[68:69], v[14:15], s[18:19], -v[30:31]
	v_add_f64 v[70:71], v[70:71], v[82:83]
	v_mul_f64 v[80:81], v[12:13], s[28:29]
	v_add_f64 v[82:83], v[92:93], v[94:95]
	v_fma_f64 v[30:31], v[14:15], s[18:19], v[30:31]
	v_add_f64 v[92:93], v[22:23], v[2:3]
	v_add_f64 v[140:141], v[155:156], v[140:141]
	;; [unrolled: 1-line block ×3, first 2 shown]
	v_mul_f64 v[26:27], v[12:13], s[26:27]
	v_add_f64 v[68:69], v[68:69], v[32:33]
	v_mul_f64 v[32:33], v[12:13], s[44:45]
	v_fma_f64 v[94:95], v[14:15], s[8:9], -v[80:81]
	v_add_f64 v[100:101], v[30:31], v[34:35]
	v_add_f64 v[30:31], v[42:43], v[92:93]
	v_mul_f64 v[34:35], v[12:13], s[36:37]
	v_add_f64 v[28:29], v[28:29], v[140:141]
	v_fma_f64 v[92:93], v[14:15], s[6:7], -v[26:27]
	v_fma_f64 v[26:27], v[14:15], s[6:7], v[26:27]
	v_fma_f64 v[140:141], v[14:15], s[30:31], -v[32:33]
	v_add_f64 v[94:95], v[94:95], v[54:55]
	v_add_f64 v[64:65], v[150:151], v[64:65]
	;; [unrolled: 1-line block ×3, first 2 shown]
	v_fma_f64 v[54:55], v[14:15], s[14:15], -v[34:35]
	v_fma_f64 v[80:81], v[14:15], s[8:9], v[80:81]
	v_fma_f64 v[32:33], v[14:15], s[30:31], v[32:33]
	v_add_f64 v[26:27], v[26:27], v[0:1]
	v_add_f64 v[28:29], v[140:141], v[28:29]
	v_add_f64 v[4:5], v[4:5], -v[8:9]
	v_mul_f64 v[0:1], v[12:13], s[22:23]
	v_add_f64 v[8:9], v[50:51], v[30:31]
	v_add_f64 v[140:141], v[54:55], v[18:19]
	v_add_f64 v[54:55], v[20:21], -v[88:89]
	v_add_f64 v[66:67], v[80:81], v[66:67]
	v_add_f64 v[80:81], v[92:93], v[64:65]
	;; [unrolled: 1-line block ×3, first 2 shown]
	v_fma_f64 v[12:13], v[14:15], s[14:15], v[34:35]
	v_add_f64 v[88:89], v[10:11], v[6:7]
	v_mul_f64 v[6:7], v[4:5], s[40:41]
	v_fma_f64 v[10:11], v[14:15], s[16:17], -v[0:1]
	v_fma_f64 v[0:1], v[14:15], s[16:17], v[0:1]
	v_add_f64 v[8:9], v[46:47], v[8:9]
	v_add_f64 v[52:53], v[90:91], v[22:23]
	v_mul_f64 v[64:65], v[54:55], s[48:49]
	v_add_f64 v[34:35], v[40:41], -v[84:85]
	v_add_f64 v[70:71], v[12:13], v[70:71]
	v_fma_f64 v[12:13], v[88:89], s[30:31], -v[6:7]
	v_add_f64 v[82:83], v[10:11], v[82:83]
	v_add_f64 v[84:85], v[0:1], v[16:17]
	v_mul_f64 v[10:11], v[4:5], s[36:37]
	v_add_f64 v[0:1], v[58:59], v[8:9]
	v_fma_f64 v[8:9], v[52:53], s[14:15], -v[64:65]
	v_add_f64 v[32:33], v[86:87], v[42:43]
	v_mul_f64 v[40:41], v[34:35], s[26:27]
	v_add_f64 v[30:31], v[36:37], -v[96:97]
	v_fma_f64 v[6:7], v[88:89], s[30:31], v[6:7]
	v_add_f64 v[42:43], v[12:13], v[68:69]
	v_fma_f64 v[12:13], v[88:89], s[14:15], -v[10:11]
	v_mul_f64 v[18:19], v[4:5], s[24:25]
	v_add_f64 v[14:15], v[62:63], v[0:1]
	v_add_f64 v[8:9], v[2:3], v[8:9]
	v_fma_f64 v[22:23], v[32:33], s[6:7], -v[40:41]
	v_add_f64 v[20:21], v[98:99], v[38:39]
	v_mul_f64 v[36:37], v[30:31], s[34:35]
	v_add_f64 v[0:1], v[6:7], v[100:101]
	v_add_f64 v[16:17], v[48:49], -v[76:77]
	v_fma_f64 v[6:7], v[88:89], s[14:15], v[10:11]
	v_add_f64 v[48:49], v[12:13], v[94:95]
	v_fma_f64 v[10:11], v[88:89], s[18:19], -v[18:19]
	v_add_f64 v[38:39], v[74:75], v[14:15]
	v_add_f64 v[8:9], v[22:23], v[8:9]
	v_fma_f64 v[68:69], v[20:21], s[8:9], -v[36:37]
	v_add_f64 v[14:15], v[78:79], v[50:51]
	v_mul_f64 v[22:23], v[16:17], s[22:23]
	v_add_f64 v[50:51], v[6:7], v[66:67]
	v_add_f64 v[12:13], v[44:45], -v[72:73]
	v_fma_f64 v[6:7], v[88:89], s[18:19], v[18:19]
	v_add_f64 v[44:45], v[10:11], v[80:81]
	v_add_f64 v[10:11], v[78:79], v[38:39]
	;; [unrolled: 1-line block ×4, first 2 shown]
	v_fma_f64 v[68:69], v[14:15], s[16:17], -v[22:23]
	v_mul_f64 v[66:67], v[4:5], s[42:43]
	v_mul_f64 v[18:19], v[12:13], s[24:25]
	v_add_f64 v[46:47], v[6:7], v[26:27]
	v_add_f64 v[6:7], v[56:57], -v[60:61]
	v_mul_f64 v[56:57], v[4:5], s[22:23]
	v_mul_f64 v[60:61], v[4:5], s[28:29]
	v_add_f64 v[72:73], v[98:99], v[10:11]
	v_add_f64 v[38:39], v[68:69], v[38:39]
	;; [unrolled: 1-line block ×3, first 2 shown]
	v_fma_f64 v[68:69], v[8:9], s[18:19], -v[18:19]
	v_fma_f64 v[26:27], v[88:89], s[6:7], -v[66:67]
	v_mul_f64 v[10:11], v[6:7], s[40:41]
	v_fma_f64 v[62:63], v[88:89], s[16:17], -v[56:57]
	v_fma_f64 v[58:59], v[88:89], s[6:7], v[66:67]
	v_add_f64 v[72:73], v[86:87], v[72:73]
	v_fma_f64 v[66:67], v[88:89], s[8:9], -v[60:61]
	v_fma_f64 v[60:61], v[88:89], s[8:9], v[60:61]
	v_add_f64 v[38:39], v[68:69], v[38:39]
	v_fma_f64 v[56:57], v[88:89], s[16:17], v[56:57]
	v_fma_f64 v[68:69], v[4:5], s[30:31], -v[10:11]
	v_add_f64 v[74:75], v[26:27], v[28:29]
	v_add_f64 v[62:63], v[62:63], v[140:141]
	;; [unrolled: 1-line block ×8, first 2 shown]
	v_add_u32_e32 v38, 39, v128
	s_waitcnt lgkmcnt(0)
	s_barrier
	ds_write2_b64 v152, v[102:103], v[42:43] offset1:1
	ds_write2_b64 v152, v[48:49], v[44:45] offset0:2 offset1:3
	ds_write2_b64 v152, v[74:75], v[62:63] offset0:4 offset1:5
	;; [unrolled: 1-line block ×5, first 2 shown]
	ds_write_b64 v152, v[0:1] offset:96
	s_and_saveexec_b64 s[48:49], s[2:3]
	s_cbranch_execz .LBB0_20
; %bb.19:
	v_mul_f64 v[42:43], v[52:53], s[14:15]
	v_mul_f64 v[44:45], v[54:55], s[26:27]
	;; [unrolled: 1-line block ×8, first 2 shown]
	v_add_f64 v[42:43], v[42:43], v[64:65]
	v_fma_f64 v[62:63], v[52:53], s[6:7], -v[44:45]
	v_fma_f64 v[44:45], v[52:53], s[6:7], v[44:45]
	v_fma_f64 v[68:69], v[52:53], s[8:9], -v[56:57]
	v_fma_f64 v[72:73], v[52:53], s[18:19], -v[66:67]
	;; [unrolled: 1-line block ×3, first 2 shown]
	v_fma_f64 v[56:57], v[52:53], s[8:9], v[56:57]
	v_fma_f64 v[70:71], v[52:53], s[16:17], -v[60:61]
	v_add_f64 v[42:43], v[2:3], v[42:43]
	v_add_f64 v[62:63], v[2:3], v[62:63]
	v_fma_f64 v[60:61], v[52:53], s[16:17], v[60:61]
	v_fma_f64 v[66:67], v[52:53], s[18:19], v[66:67]
	;; [unrolled: 1-line block ×3, first 2 shown]
	v_add_f64 v[39:40], v[46:47], v[40:41]
	v_add_f64 v[46:47], v[2:3], v[72:73]
	v_mul_f64 v[54:55], v[34:35], s[40:41]
	v_add_f64 v[72:73], v[2:3], v[74:75]
	v_fma_f64 v[74:75], v[32:33], s[16:17], -v[76:77]
	v_mul_f64 v[78:79], v[34:35], s[38:39]
	v_mul_f64 v[48:49], v[20:21], s[8:9]
	v_add_f64 v[44:45], v[2:3], v[44:45]
	v_add_f64 v[68:69], v[2:3], v[68:69]
	;; [unrolled: 1-line block ×8, first 2 shown]
	v_fma_f64 v[41:42], v[32:33], s[16:17], v[76:77]
	v_fma_f64 v[52:53], v[32:33], s[30:31], -v[54:55]
	v_mul_f64 v[76:77], v[34:35], s[28:29]
	v_fma_f64 v[54:55], v[32:33], s[30:31], v[54:55]
	v_add_f64 v[62:63], v[74:75], v[62:63]
	v_fma_f64 v[74:75], v[32:33], s[18:19], -v[78:79]
	v_mul_f64 v[34:35], v[34:35], s[36:37]
	v_fma_f64 v[78:79], v[32:33], s[18:19], v[78:79]
	v_add_f64 v[41:42], v[41:42], v[44:45]
	v_add_f64 v[43:44], v[52:53], v[68:69]
	v_fma_f64 v[52:53], v[32:33], s[8:9], -v[76:77]
	v_add_f64 v[54:55], v[54:55], v[56:57]
	v_fma_f64 v[56:57], v[32:33], s[8:9], v[76:77]
	v_add_f64 v[68:69], v[74:75], v[70:71]
	v_fma_f64 v[70:71], v[32:33], s[14:15], -v[34:35]
	v_mul_f64 v[74:75], v[30:31], s[40:41]
	v_fma_f64 v[32:33], v[32:33], s[14:15], v[34:35]
	v_add_f64 v[36:37], v[48:49], v[36:37]
	v_mul_f64 v[50:51], v[14:15], s[16:17]
	v_add_f64 v[34:35], v[52:53], v[46:47]
	v_add_f64 v[45:46], v[56:57], v[66:67]
	v_mul_f64 v[47:48], v[30:31], s[46:47]
	v_mul_f64 v[56:57], v[30:31], s[36:37]
	v_fma_f64 v[66:67], v[20:21], s[30:31], -v[74:75]
	v_add_f64 v[2:3], v[32:33], v[2:3]
	v_fma_f64 v[32:33], v[20:21], s[30:31], v[74:75]
	v_add_f64 v[36:37], v[36:37], v[39:40]
	v_mul_f64 v[39:40], v[30:31], s[26:27]
	v_mul_f64 v[30:31], v[30:31], s[24:25]
	v_add_f64 v[52:53], v[70:71], v[72:73]
	v_fma_f64 v[70:71], v[20:21], s[16:17], -v[47:48]
	v_fma_f64 v[47:48], v[20:21], s[16:17], v[47:48]
	v_fma_f64 v[72:73], v[20:21], s[14:15], -v[56:57]
	v_add_f64 v[62:63], v[66:67], v[62:63]
	v_add_f64 v[32:33], v[32:33], v[41:42]
	v_fma_f64 v[41:42], v[20:21], s[14:15], v[56:57]
	v_fma_f64 v[56:57], v[20:21], s[6:7], -v[39:40]
	v_fma_f64 v[39:40], v[20:21], s[6:7], v[39:40]
	v_fma_f64 v[66:67], v[20:21], s[18:19], -v[30:31]
	v_fma_f64 v[20:21], v[20:21], s[18:19], v[30:31]
	v_mul_f64 v[30:31], v[16:17], s[36:37]
	v_add_f64 v[22:23], v[50:51], v[22:23]
	v_add_f64 v[60:61], v[78:79], v[60:61]
	;; [unrolled: 1-line block ×5, first 2 shown]
	v_mul_f64 v[68:69], v[16:17], s[38:39]
	v_add_f64 v[39:40], v[39:40], v[45:46]
	v_add_f64 v[45:46], v[66:67], v[52:53]
	v_mul_f64 v[51:52], v[16:17], s[34:35]
	v_add_f64 v[2:3], v[20:21], v[2:3]
	v_fma_f64 v[20:21], v[14:15], s[14:15], -v[30:31]
	v_add_f64 v[22:23], v[22:23], v[36:37]
	v_mul_f64 v[36:37], v[16:17], s[44:45]
	v_mul_f64 v[58:59], v[8:9], s[18:19]
	v_add_f64 v[41:42], v[41:42], v[60:61]
	v_add_f64 v[34:35], v[56:57], v[34:35]
	v_fma_f64 v[56:57], v[14:15], s[18:19], v[68:69]
	v_fma_f64 v[30:31], v[14:15], s[14:15], v[30:31]
	v_fma_f64 v[60:61], v[14:15], s[8:9], -v[51:52]
	v_mul_f64 v[16:17], v[16:17], s[42:43]
	v_add_f64 v[20:21], v[20:21], v[43:44]
	v_fma_f64 v[43:44], v[14:15], s[8:9], v[51:52]
	v_fma_f64 v[51:52], v[14:15], s[30:31], -v[36:37]
	v_fma_f64 v[36:37], v[14:15], s[30:31], v[36:37]
	v_fma_f64 v[49:50], v[14:15], s[18:19], -v[68:69]
	v_add_f64 v[32:33], v[56:57], v[32:33]
	v_add_f64 v[30:31], v[30:31], v[47:48]
	;; [unrolled: 1-line block ×3, first 2 shown]
	v_mul_f64 v[53:54], v[12:13], s[28:29]
	v_fma_f64 v[55:56], v[14:15], s[6:7], -v[16:17]
	v_add_f64 v[18:19], v[58:59], v[18:19]
	v_add_f64 v[36:37], v[36:37], v[39:40]
	v_mul_f64 v[39:40], v[12:13], s[26:27]
	v_fma_f64 v[14:15], v[14:15], s[6:7], v[16:17]
	v_add_f64 v[49:50], v[49:50], v[62:63]
	v_add_f64 v[16:17], v[43:44], v[41:42]
	;; [unrolled: 1-line block ×3, first 2 shown]
	v_fma_f64 v[41:42], v[8:9], s[8:9], -v[53:54]
	v_add_f64 v[43:44], v[55:56], v[45:46]
	v_mul_f64 v[45:46], v[12:13], s[44:45]
	v_add_f64 v[18:19], v[18:19], v[22:23]
	v_mul_f64 v[22:23], v[12:13], s[36:37]
	v_fma_f64 v[51:52], v[8:9], s[6:7], -v[39:40]
	v_mul_f64 v[12:13], v[12:13], s[22:23]
	v_fma_f64 v[39:40], v[8:9], s[6:7], v[39:40]
	v_add_f64 v[2:3], v[14:15], v[2:3]
	v_fma_f64 v[14:15], v[8:9], s[8:9], v[53:54]
	v_mul_f64 v[64:65], v[4:5], s[30:31]
	v_add_f64 v[41:42], v[41:42], v[49:50]
	v_fma_f64 v[49:50], v[8:9], s[14:15], -v[22:23]
	v_add_f64 v[20:21], v[51:52], v[20:21]
	v_fma_f64 v[22:23], v[8:9], s[14:15], v[22:23]
	v_fma_f64 v[51:52], v[8:9], s[16:17], -v[12:13]
	v_add_f64 v[30:31], v[39:40], v[30:31]
	v_mul_f64 v[39:40], v[6:7], s[36:37]
	v_add_f64 v[14:15], v[14:15], v[32:33]
	v_fma_f64 v[32:33], v[8:9], s[30:31], -v[45:46]
	v_fma_f64 v[45:46], v[8:9], s[30:31], v[45:46]
	v_fma_f64 v[8:9], v[8:9], s[16:17], v[12:13]
	v_add_f64 v[12:13], v[22:23], v[36:37]
	v_add_f64 v[22:23], v[51:52], v[43:44]
	;; [unrolled: 1-line block ×3, first 2 shown]
	v_fma_f64 v[36:37], v[4:5], s[14:15], -v[39:40]
	v_mul_f64 v[43:44], v[6:7], s[24:25]
	v_fma_f64 v[39:40], v[4:5], s[14:15], v[39:40]
	v_add_f64 v[16:17], v[45:46], v[16:17]
	v_mul_f64 v[45:46], v[6:7], s[42:43]
	v_add_f64 v[2:3], v[8:9], v[2:3]
	v_mul_f64 v[8:9], v[6:7], s[22:23]
	v_mul_f64 v[6:7], v[6:7], s[28:29]
	v_add_f64 v[10:11], v[10:11], v[18:19]
	v_add_f64 v[18:19], v[36:37], v[41:42]
	v_fma_f64 v[36:37], v[4:5], s[18:19], -v[43:44]
	v_add_f64 v[32:33], v[32:33], v[47:48]
	v_add_f64 v[34:35], v[49:50], v[34:35]
	;; [unrolled: 1-line block ×3, first 2 shown]
	v_fma_f64 v[39:40], v[4:5], s[6:7], -v[45:46]
	v_fma_f64 v[41:42], v[4:5], s[6:7], v[45:46]
	v_fma_f64 v[45:46], v[4:5], s[16:17], -v[8:9]
	v_fma_f64 v[47:48], v[4:5], s[8:9], -v[6:7]
	v_fma_f64 v[6:7], v[4:5], s[8:9], v[6:7]
	v_fma_f64 v[8:9], v[4:5], s[16:17], v[8:9]
	;; [unrolled: 1-line block ×3, first 2 shown]
	v_add_f64 v[20:21], v[36:37], v[20:21]
	v_add_f64 v[32:33], v[39:40], v[32:33]
	;; [unrolled: 1-line block ×8, first 2 shown]
	v_mul_u32_u24_e32 v8, 0x68, v38
	v_add3_u32 v8, 0, v8, v129
	ds_write2_b64 v8, v[28:29], v[26:27] offset1:1
	ds_write2_b64 v8, v[18:19], v[20:21] offset0:2 offset1:3
	ds_write2_b64 v8, v[32:33], v[34:35] offset0:4 offset1:5
	;; [unrolled: 1-line block ×5, first 2 shown]
	ds_write_b64 v8, v[10:11] offset:96
.LBB0_20:
	s_or_b64 exec, exec, s[48:49]
	v_add_u32_e32 v3, 0x800, v139
	v_add_u32_e32 v2, 0x400, v139
	s_waitcnt lgkmcnt(0)
	s_barrier
	ds_read2_b64 v[4:7], v139 offset0:117 offset1:182
	ds_read2_b64 v[12:15], v3 offset0:43 offset1:108
	;; [unrolled: 1-line block ×5, first 2 shown]
	ds_read_b64 v[30:31], v138
	ds_read_b64 v[32:33], v139 offset:3848
	s_and_saveexec_b64 s[2:3], s[0:1]
	s_cbranch_execz .LBB0_22
; %bb.21:
	ds_read2_b64 v[0:3], v2 offset0:28 offset1:210
	ds_read_b64 v[26:27], v139 offset:4160
	s_waitcnt lgkmcnt(1)
	v_mov_b32_e32 v29, v3
	v_mov_b32_e32 v28, v2
.LBB0_22:
	s_or_b64 exec, exec, s[2:3]
	s_movk_i32 s2, 0x4f
	v_mul_lo_u16_sdwa v2, v128, s2 dst_sel:DWORD dst_unused:UNUSED_PAD src0_sel:BYTE_0 src1_sel:DWORD
	v_lshrrev_b16_e32 v2, 10, v2
	v_mul_lo_u16_e32 v3, 13, v2
	v_sub_u16_e32 v3, v128, v3
	v_mov_b32_e32 v43, 5
	v_lshlrev_b32_sdwa v44, v43, v3 dst_sel:DWORD dst_unused:UNUSED_PAD src0_sel:DWORD src1_sel:BYTE_0
	global_load_dwordx4 v[34:37], v44, s[12:13] offset:16
	global_load_dwordx4 v[39:42], v44, s[12:13]
	v_mul_lo_u16_sdwa v44, v38, s2 dst_sel:DWORD dst_unused:UNUSED_PAD src0_sel:BYTE_0 src1_sel:DWORD
	v_lshrrev_b16_e32 v44, 10, v44
	v_mul_lo_u16_e32 v45, 13, v44
	v_sub_u16_e32 v38, v38, v45
	v_lshlrev_b32_sdwa v45, v43, v38 dst_sel:DWORD dst_unused:UNUSED_PAD src0_sel:DWORD src1_sel:BYTE_0
	global_load_dwordx4 v[61:64], v45, s[12:13] offset:16
	global_load_dwordx4 v[46:49], v45, s[12:13]
	v_add_u16_e32 v45, 0x4e, v128
	v_mul_lo_u16_sdwa v50, v45, s2 dst_sel:DWORD dst_unused:UNUSED_PAD src0_sel:BYTE_0 src1_sel:DWORD
	v_lshrrev_b16_e32 v103, 10, v50
	v_mul_lo_u16_e32 v50, 13, v103
	v_sub_u16_e32 v142, v45, v50
	v_lshlrev_b32_sdwa v45, v43, v142 dst_sel:DWORD dst_unused:UNUSED_PAD src0_sel:DWORD src1_sel:BYTE_0
	global_load_dwordx4 v[65:68], v45, s[12:13] offset:16
	global_load_dwordx4 v[69:72], v45, s[12:13]
	v_add_u16_e32 v45, 0x75, v128
	;; [unrolled: 8-line block ×3, first 2 shown]
	v_mul_lo_u16_sdwa v50, v45, s2 dst_sel:DWORD dst_unused:UNUSED_PAD src0_sel:BYTE_0 src1_sel:DWORD
	v_lshrrev_b16_e32 v56, 10, v50
	v_mul_lo_u16_e32 v50, 13, v56
	v_sub_u16_e32 v57, v45, v50
	v_lshlrev_b32_sdwa v43, v43, v57 dst_sel:DWORD dst_unused:UNUSED_PAD src0_sel:DWORD src1_sel:BYTE_0
	global_load_dwordx4 v[81:84], v43, s[12:13]
	global_load_dwordx4 v[85:88], v43, s[12:13] offset:16
	s_movk_i32 s14, 0x138
	v_mov_b32_e32 v60, 3
	v_mad_u32_u24 v2, v2, s14, 0
	v_mad_u32_u24 v43, v44, s14, 0
	v_lshlrev_b32_sdwa v3, v60, v3 dst_sel:DWORD dst_unused:UNUSED_PAD src0_sel:DWORD src1_sel:BYTE_0
	v_lshlrev_b32_sdwa v38, v60, v38 dst_sel:DWORD dst_unused:UNUSED_PAD src0_sel:DWORD src1_sel:BYTE_0
	v_add3_u32 v59, v2, v3, v129
	v_add3_u32 v58, v43, v38, v129
	s_mov_b32 s2, 0xe8584caa
	s_mov_b32 s3, 0xbfebb67a
	;; [unrolled: 1-line block ×4, first 2 shown]
	s_waitcnt vmcnt(0) lgkmcnt(0)
	s_barrier
	v_mul_f64 v[43:44], v[14:15], v[36:37]
	v_mul_f64 v[2:3], v[6:7], v[41:42]
	;; [unrolled: 1-line block ×8, first 2 shown]
	v_fma_f64 v[48:49], v[110:111], v[39:40], v[2:3]
	v_fma_f64 v[52:53], v[118:119], v[34:35], v[43:44]
	v_fma_f64 v[54:55], v[6:7], v[39:40], -v[41:42]
	v_mul_f64 v[95:96], v[18:19], v[67:68]
	v_mul_f64 v[93:94], v[22:23], v[71:72]
	;; [unrolled: 1-line block ×4, first 2 shown]
	v_fma_f64 v[44:45], v[124:125], v[46:47], v[50:51]
	v_fma_f64 v[50:51], v[20:21], v[46:47], -v[89:90]
	v_fma_f64 v[46:47], v[120:121], v[61:62], v[91:92]
	v_mul_f64 v[99:100], v[32:33], v[75:76]
	v_mul_f64 v[97:98], v[12:13], v[79:80]
	;; [unrolled: 1-line block ×4, first 2 shown]
	v_fma_f64 v[2:3], v[16:17], v[61:62], -v[63:64]
	v_fma_f64 v[20:21], v[126:127], v[69:70], v[93:94]
	v_fma_f64 v[42:43], v[22:23], v[69:70], -v[71:72]
	v_fma_f64 v[22:23], v[122:123], v[65:66], v[95:96]
	v_mul_f64 v[140:141], v[26:27], v[87:88]
	v_mul_f64 v[87:88], v[24:25], v[87:88]
	v_fma_f64 v[6:7], v[18:19], v[65:66], -v[67:68]
	v_fma_f64 v[16:17], v[116:117], v[77:78], v[97:98]
	v_fma_f64 v[18:19], v[136:137], v[73:74], v[99:100]
	v_mul_f64 v[101:102], v[28:29], v[83:84]
	v_mul_f64 v[83:84], v[106:107], v[83:84]
	v_fma_f64 v[14:15], v[14:15], v[34:35], -v[36:37]
	v_fma_f64 v[40:41], v[12:13], v[77:78], -v[79:80]
	;; [unrolled: 1-line block ×4, first 2 shown]
	v_add_f64 v[26:27], v[48:49], v[52:53]
	v_add_f64 v[63:64], v[44:45], v[46:47]
	;; [unrolled: 1-line block ×4, first 2 shown]
	v_fma_f64 v[38:39], v[28:29], v[81:82], -v[83:84]
	v_fma_f64 v[36:37], v[24:25], v[85:86], v[140:141]
	v_add_f64 v[24:25], v[134:135], v[48:49]
	v_add_f64 v[28:29], v[54:55], -v[14:15]
	v_fma_f64 v[26:27], v[26:27], -0.5, v[134:135]
	v_add_f64 v[61:62], v[112:113], v[44:45]
	v_add_f64 v[65:66], v[50:51], -v[2:3]
	v_fma_f64 v[63:64], v[63:64], -0.5, v[112:113]
	v_add_f64 v[67:68], v[114:115], v[20:21]
	v_add_f64 v[71:72], v[42:43], -v[6:7]
	v_add_f64 v[73:74], v[108:109], v[16:17]
	v_add_f64 v[77:78], v[40:41], -v[12:13]
	v_fma_f64 v[69:70], v[69:70], -0.5, v[114:115]
	v_fma_f64 v[75:76], v[75:76], -0.5, v[108:109]
	v_add_f64 v[24:25], v[24:25], v[52:53]
	v_fma_f64 v[79:80], v[28:29], s[2:3], v[26:27]
	v_fma_f64 v[26:27], v[28:29], s[6:7], v[26:27]
	v_add_f64 v[61:62], v[61:62], v[46:47]
	v_fma_f64 v[28:29], v[65:66], s[2:3], v[63:64]
	v_fma_f64 v[34:35], v[106:107], v[81:82], v[101:102]
	v_add_f64 v[67:68], v[67:68], v[22:23]
	v_add_f64 v[73:74], v[73:74], v[18:19]
	v_fma_f64 v[63:64], v[65:66], s[6:7], v[63:64]
	v_fma_f64 v[65:66], v[71:72], s[2:3], v[69:70]
	;; [unrolled: 1-line block ×5, first 2 shown]
	ds_write2_b64 v59, v[24:25], v[79:80] offset1:13
	ds_write_b64 v59, v[26:27] offset:208
	ds_write2_b64 v58, v[61:62], v[28:29] offset1:13
	ds_write_b64 v58, v[63:64] offset:208
	v_mad_u32_u24 v24, v103, s14, 0
	v_lshlrev_b32_sdwa v25, v60, v142 dst_sel:DWORD dst_unused:UNUSED_PAD src0_sel:DWORD src1_sel:BYTE_0
	v_add3_u32 v61, v24, v25, v129
	v_mad_u32_u24 v24, v143, s14, 0
	v_lshlrev_b32_sdwa v25, v60, v144 dst_sel:DWORD dst_unused:UNUSED_PAD src0_sel:DWORD src1_sel:BYTE_0
	v_add3_u32 v62, v24, v25, v129
	ds_write2_b64 v61, v[67:68], v[65:66] offset1:13
	ds_write_b64 v61, v[69:70] offset:208
	ds_write2_b64 v62, v[73:74], v[71:72] offset1:13
	ds_write_b64 v62, v[75:76] offset:208
	s_and_saveexec_b64 s[8:9], s[0:1]
	s_cbranch_execz .LBB0_24
; %bb.23:
	v_add_f64 v[24:25], v[34:35], v[36:37]
	v_add_f64 v[26:27], v[38:39], -v[32:33]
	v_add_f64 v[28:29], v[104:105], v[34:35]
	v_fma_f64 v[24:25], v[24:25], -0.5, v[104:105]
	v_add_f64 v[28:29], v[28:29], v[36:37]
	v_fma_f64 v[63:64], v[26:27], s[2:3], v[24:25]
	v_fma_f64 v[24:25], v[26:27], s[6:7], v[24:25]
	v_mad_u32_u24 v26, v56, s14, 0
	v_lshlrev_b32_sdwa v27, v60, v57 dst_sel:DWORD dst_unused:UNUSED_PAD src0_sel:DWORD src1_sel:BYTE_0
	v_add3_u32 v26, v26, v27, v129
	ds_write2_b64 v26, v[28:29], v[63:64] offset1:13
	ds_write_b64 v26, v[24:25] offset:208
.LBB0_24:
	s_or_b64 exec, exec, s[8:9]
	v_add_f64 v[24:25], v[54:55], v[14:15]
	v_add_f64 v[26:27], v[30:31], v[54:55]
	v_add_f64 v[28:29], v[48:49], -v[52:53]
	v_add_f64 v[48:49], v[8:9], v[50:51]
	v_add_f64 v[50:51], v[50:51], v[2:3]
	v_add_f64 v[44:45], v[44:45], -v[46:47]
	v_add_f64 v[46:47], v[42:43], v[6:7]
	v_add_f64 v[20:21], v[20:21], -v[22:23]
	v_fma_f64 v[24:25], v[24:25], -0.5, v[30:31]
	v_add_f64 v[30:31], v[10:11], v[42:43]
	v_add_f64 v[42:43], v[40:41], v[12:13]
	;; [unrolled: 1-line block ×3, first 2 shown]
	v_fma_f64 v[8:9], v[50:51], -0.5, v[8:9]
	v_add_f64 v[40:41], v[26:27], v[14:15]
	v_fma_f64 v[10:11], v[46:47], -0.5, v[10:11]
	v_add_f64 v[14:15], v[16:17], -v[18:19]
	v_fma_f64 v[46:47], v[28:29], s[6:7], v[24:25]
	v_add_f64 v[52:53], v[30:31], v[6:7]
	v_fma_f64 v[4:5], v[42:43], -0.5, v[4:5]
	v_add_u32_e32 v30, 0x800, v139
	v_fma_f64 v[50:51], v[28:29], s[2:3], v[24:25]
	v_add_f64 v[42:43], v[48:49], v[2:3]
	v_fma_f64 v[48:49], v[44:45], s[6:7], v[8:9]
	v_fma_f64 v[44:45], v[44:45], s[2:3], v[8:9]
	;; [unrolled: 1-line block ×4, first 2 shown]
	v_add_f64 v[65:66], v[22:23], v[12:13]
	v_fma_f64 v[67:68], v[14:15], s[6:7], v[4:5]
	v_fma_f64 v[69:70], v[14:15], s[2:3], v[4:5]
	s_waitcnt lgkmcnt(0)
	s_barrier
	ds_read2_b64 v[2:5], v139 offset0:39 offset1:78
	ds_read2_b64 v[22:25], v139 offset0:117 offset1:156
	;; [unrolled: 1-line block ×6, first 2 shown]
	ds_read_b64 v[28:29], v138
	ds_read_b64 v[26:27], v139 offset:4056
	s_waitcnt lgkmcnt(0)
	s_barrier
	ds_write2_b64 v59, v[40:41], v[46:47] offset1:13
	ds_write_b64 v59, v[50:51] offset:208
	ds_write2_b64 v58, v[42:43], v[48:49] offset1:13
	ds_write_b64 v58, v[44:45] offset:208
	;; [unrolled: 2-line block ×4, first 2 shown]
	s_and_saveexec_b64 s[2:3], s[0:1]
	s_cbranch_execz .LBB0_26
; %bb.25:
	v_add_f64 v[40:41], v[38:39], v[32:33]
	v_add_f64 v[38:39], v[0:1], v[38:39]
	v_add_f64 v[34:35], v[34:35], -v[36:37]
	s_mov_b32 s1, 0x3febb67a
	s_mov_b32 s0, 0xe8584caa
	v_fma_f64 v[0:1], v[40:41], -0.5, v[0:1]
	v_add_f64 v[31:32], v[38:39], v[32:33]
	v_fma_f64 v[36:37], v[34:35], s[0:1], v[0:1]
	s_mov_b32 s1, 0xbfebb67a
	v_fma_f64 v[0:1], v[34:35], s[0:1], v[0:1]
	s_movk_i32 s0, 0x138
	v_mov_b32_e32 v34, 3
	v_mad_u32_u24 v33, v56, s0, 0
	v_lshlrev_b32_sdwa v34, v34, v57 dst_sel:DWORD dst_unused:UNUSED_PAD src0_sel:DWORD src1_sel:BYTE_0
	v_add3_u32 v33, v33, v34, v129
	ds_write2_b64 v33, v[31:32], v[36:37] offset1:13
	ds_write_b64 v33, v[0:1] offset:208
.LBB0_26:
	s_or_b64 exec, exec, s[2:3]
	v_mul_u32_u24_e32 v0, 6, v128
	v_lshlrev_b32_e32 v0, 4, v0
	s_waitcnt lgkmcnt(0)
	s_barrier
	global_load_dwordx4 v[31:34], v0, s[12:13] offset:416
	global_load_dwordx4 v[35:38], v0, s[12:13] offset:432
	;; [unrolled: 1-line block ×6, first 2 shown]
	ds_read2_b64 v[55:58], v139 offset0:39 offset1:78
	ds_read2_b64 v[59:62], v139 offset0:117 offset1:156
	;; [unrolled: 1-line block ×6, first 2 shown]
	ds_read_b64 v[0:1], v138
	ds_read_b64 v[79:80], v139 offset:4056
	s_mov_b32 s2, 0x37e14327
	s_mov_b32 s0, 0x36b3c0b5
	;; [unrolled: 1-line block ×20, first 2 shown]
	s_waitcnt vmcnt(0) lgkmcnt(0)
	s_barrier
	v_mul_f64 v[81:82], v[57:58], v[33:34]
	v_mul_f64 v[83:84], v[4:5], v[33:34]
	v_mul_f64 v[85:86], v[61:62], v[37:38]
	v_mul_f64 v[87:88], v[24:25], v[37:38]
	v_mul_f64 v[97:98], v[73:74], v[49:50]
	v_mul_f64 v[99:100], v[12:13], v[49:50]
	v_mul_f64 v[101:102], v[77:78], v[53:54]
	v_mul_f64 v[103:104], v[8:9], v[53:54]
	v_mul_f64 v[89:90], v[65:66], v[41:42]
	v_mul_f64 v[91:92], v[16:17], v[41:42]
	v_mul_f64 v[93:94], v[69:70], v[45:46]
	v_mul_f64 v[95:96], v[20:21], v[45:46]
	v_mul_f64 v[105:106], v[59:60], v[33:34]
	v_mul_f64 v[33:34], v[22:23], v[33:34]
	v_mul_f64 v[107:108], v[63:64], v[37:38]
	v_mul_f64 v[37:38], v[14:15], v[37:38]
	v_mul_f64 v[109:110], v[67:68], v[41:42]
	v_mul_f64 v[41:42], v[18:19], v[41:42]
	v_mul_f64 v[111:112], v[71:72], v[45:46]
	v_mul_f64 v[45:46], v[10:11], v[45:46]
	v_mul_f64 v[113:114], v[75:76], v[49:50]
	v_mul_f64 v[49:50], v[6:7], v[49:50]
	v_fma_f64 v[4:5], v[4:5], v[31:32], v[81:82]
	v_fma_f64 v[57:58], v[57:58], v[31:32], -v[83:84]
	v_fma_f64 v[24:25], v[24:25], v[35:36], v[85:86]
	v_fma_f64 v[61:62], v[61:62], v[35:36], -v[87:88]
	;; [unrolled: 2-line block ×11, first 2 shown]
	v_add_f64 v[41:42], v[4:5], v[8:9]
	v_add_f64 v[43:44], v[57:58], v[77:78]
	;; [unrolled: 1-line block ×4, first 2 shown]
	v_add_f64 v[4:5], v[4:5], -v[8:9]
	v_add_f64 v[8:9], v[57:58], -v[77:78]
	;; [unrolled: 1-line block ×4, first 2 shown]
	v_add_f64 v[49:50], v[16:17], v[20:21]
	v_add_f64 v[57:58], v[65:66], v[69:70]
	v_add_f64 v[16:17], v[20:21], -v[16:17]
	v_add_f64 v[20:21], v[69:70], -v[65:66]
	v_add_f64 v[59:60], v[45:46], v[41:42]
	v_add_f64 v[61:62], v[47:48], v[43:44]
	v_add_f64 v[63:64], v[45:46], -v[41:42]
	v_add_f64 v[65:66], v[47:48], -v[43:44]
	;; [unrolled: 1-line block ×6, first 2 shown]
	v_add_f64 v[67:68], v[16:17], v[12:13]
	v_add_f64 v[69:70], v[20:21], v[24:25]
	v_add_f64 v[71:72], v[16:17], -v[12:13]
	v_add_f64 v[73:74], v[20:21], -v[24:25]
	;; [unrolled: 1-line block ×4, first 2 shown]
	v_add_f64 v[49:50], v[49:50], v[59:60]
	v_add_f64 v[57:58], v[57:58], v[61:62]
	v_add_f64 v[16:17], v[4:5], -v[16:17]
	v_add_f64 v[20:21], v[8:9], -v[20:21]
	v_add_f64 v[4:5], v[67:68], v[4:5]
	v_add_f64 v[8:9], v[69:70], v[8:9]
	v_mul_f64 v[41:42], v[41:42], s[2:3]
	v_mul_f64 v[43:44], v[43:44], s[2:3]
	v_mul_f64 v[59:60], v[45:46], s[0:1]
	v_mul_f64 v[61:62], v[47:48], s[0:1]
	v_mul_f64 v[67:68], v[71:72], s[8:9]
	v_mul_f64 v[69:70], v[73:74], s[8:9]
	v_mul_f64 v[71:72], v[12:13], s[6:7]
	v_mul_f64 v[73:74], v[24:25], s[6:7]
	v_add_f64 v[28:29], v[28:29], v[49:50]
	v_add_f64 v[75:76], v[0:1], v[57:58]
	v_mul_f64 v[115:116], v[79:80], v[53:54]
	v_mul_f64 v[53:54], v[26:27], v[53:54]
	v_fma_f64 v[0:1], v[45:46], s[0:1], v[41:42]
	v_fma_f64 v[45:46], v[47:48], s[0:1], v[43:44]
	v_fma_f64 v[47:48], v[63:64], s[16:17], -v[59:60]
	v_fma_f64 v[59:60], v[65:66], s[16:17], -v[61:62]
	;; [unrolled: 1-line block ×4, first 2 shown]
	v_fma_f64 v[49:50], v[49:50], s[14:15], v[28:29]
	v_fma_f64 v[57:58], v[57:58], s[14:15], v[75:76]
	;; [unrolled: 1-line block ×4, first 2 shown]
	v_fma_f64 v[12:13], v[12:13], s[6:7], -v[67:68]
	v_fma_f64 v[24:25], v[24:25], s[6:7], -v[69:70]
	;; [unrolled: 1-line block ×4, first 2 shown]
	v_add_f64 v[0:1], v[0:1], v[49:50]
	v_add_f64 v[45:46], v[45:46], v[57:58]
	v_add_f64 v[47:48], v[47:48], v[49:50]
	v_add_f64 v[59:60], v[59:60], v[57:58]
	v_add_f64 v[41:42], v[41:42], v[49:50]
	v_add_f64 v[43:44], v[43:44], v[57:58]
	v_fma_f64 v[49:50], v[8:9], s[24:25], v[63:64]
	v_fma_f64 v[57:58], v[4:5], s[24:25], v[61:62]
	;; [unrolled: 1-line block ×7, first 2 shown]
	v_fma_f64 v[24:25], v[79:80], v[51:52], -v[53:54]
	v_add_f64 v[26:27], v[49:50], v[0:1]
	v_add_f64 v[0:1], v[0:1], -v[49:50]
	v_add_f64 v[53:54], v[20:21], v[41:42]
	v_add_f64 v[61:62], v[43:44], -v[16:17]
	v_add_f64 v[63:64], v[47:48], -v[8:9]
	v_add_f64 v[65:66], v[4:5], v[59:60]
	v_add_f64 v[8:9], v[8:9], v[47:48]
	v_add_f64 v[47:48], v[59:60], -v[4:5]
	v_add_f64 v[4:5], v[41:42], -v[20:21]
	v_add_f64 v[41:42], v[16:17], v[43:44]
	v_add_f64 v[16:17], v[22:23], v[12:13]
	;; [unrolled: 1-line block ×3, first 2 shown]
	v_add_f64 v[12:13], v[22:23], -v[12:13]
	v_add_f64 v[22:23], v[31:32], -v[24:25]
	v_add_f64 v[24:25], v[14:15], v[6:7]
	v_add_f64 v[31:32], v[33:34], v[39:40]
	v_add_f64 v[6:7], v[14:15], -v[6:7]
	v_add_f64 v[14:15], v[33:34], -v[39:40]
	v_add_f64 v[33:34], v[18:19], v[10:11]
	v_add_f64 v[39:40], v[35:36], v[37:38]
	;; [unrolled: 4-line block ×3, first 2 shown]
	v_add_f64 v[43:44], v[24:25], -v[16:17]
	v_add_f64 v[59:60], v[31:32], -v[20:21]
	v_add_f64 v[16:17], v[16:17], -v[33:34]
	v_add_f64 v[20:21], v[20:21], -v[39:40]
	v_add_f64 v[24:25], v[33:34], -v[24:25]
	v_add_f64 v[31:32], v[39:40], -v[31:32]
	v_add_f64 v[69:70], v[18:19], v[14:15]
	v_add_f64 v[73:74], v[18:19], -v[14:15]
	v_add_f64 v[33:34], v[33:34], v[35:36]
	v_add_f64 v[35:36], v[39:40], v[37:38]
	v_add_f64 v[14:15], v[14:15], -v[22:23]
	v_add_f64 v[67:68], v[10:11], v[6:7]
	v_add_f64 v[71:72], v[10:11], -v[6:7]
	v_add_f64 v[6:7], v[6:7], -v[12:13]
	;; [unrolled: 1-line block ×3, first 2 shown]
	v_add_f64 v[22:23], v[69:70], v[22:23]
	v_add_f64 v[2:3], v[2:3], v[33:34]
	;; [unrolled: 1-line block ×3, first 2 shown]
	v_mul_f64 v[16:17], v[16:17], s[2:3]
	v_mul_f64 v[20:21], v[20:21], s[2:3]
	v_mul_f64 v[39:40], v[24:25], s[0:1]
	v_mul_f64 v[55:56], v[31:32], s[0:1]
	v_mul_f64 v[69:70], v[73:74], s[8:9]
	v_mul_f64 v[73:74], v[14:15], s[6:7]
	v_add_f64 v[10:11], v[12:13], -v[10:11]
	v_add_f64 v[12:13], v[67:68], v[12:13]
	v_mul_f64 v[67:68], v[71:72], s[8:9]
	v_mul_f64 v[71:72], v[6:7], s[6:7]
	v_fma_f64 v[33:34], v[33:34], s[14:15], v[2:3]
	v_fma_f64 v[24:25], v[24:25], s[0:1], v[16:17]
	v_fma_f64 v[31:32], v[31:32], s[0:1], v[20:21]
	v_fma_f64 v[39:40], v[43:44], s[16:17], -v[39:40]
	v_fma_f64 v[55:56], v[59:60], s[16:17], -v[55:56]
	;; [unrolled: 1-line block ×4, first 2 shown]
	v_fma_f64 v[59:60], v[18:19], s[22:23], v[69:70]
	v_fma_f64 v[18:19], v[18:19], s[26:27], -v[73:74]
	v_fma_f64 v[14:15], v[14:15], s[6:7], -v[69:70]
	v_fma_f64 v[35:36], v[35:36], s[14:15], v[37:38]
	v_fma_f64 v[43:44], v[10:11], s[22:23], v[67:68]
	v_fma_f64 v[6:7], v[6:7], s[6:7], -v[67:68]
	v_fma_f64 v[10:11], v[10:11], s[26:27], -v[71:72]
	v_add_f64 v[24:25], v[24:25], v[33:34]
	v_add_f64 v[39:40], v[39:40], v[33:34]
	;; [unrolled: 1-line block ×3, first 2 shown]
	v_fma_f64 v[33:34], v[22:23], s[24:25], v[59:60]
	v_fma_f64 v[18:19], v[22:23], s[24:25], v[18:19]
	;; [unrolled: 1-line block ×3, first 2 shown]
	v_add_f64 v[55:56], v[55:56], v[35:36]
	v_add_f64 v[20:21], v[20:21], v[35:36]
	v_fma_f64 v[10:11], v[12:13], s[24:25], v[10:11]
	v_fma_f64 v[6:7], v[12:13], s[24:25], v[6:7]
	v_add_f64 v[31:32], v[31:32], v[35:36]
	v_fma_f64 v[35:36], v[12:13], s[24:25], v[43:44]
	v_add_f64 v[12:13], v[33:34], v[24:25]
	v_add_f64 v[22:23], v[18:19], v[16:17]
	v_add_f64 v[51:52], v[45:46], -v[57:58]
	v_add_f64 v[43:44], v[57:58], v[45:46]
	v_add_f64 v[57:58], v[39:40], -v[14:15]
	;; [unrolled: 2-line block ×4, first 2 shown]
	v_add_f64 v[6:7], v[16:17], -v[18:19]
	v_add_f64 v[55:56], v[10:11], v[20:21]
	v_add_f64 v[10:11], v[24:25], -v[33:34]
	ds_write2_b64 v139, v[28:29], v[26:27] offset1:39
	ds_write2_b64 v139, v[53:54], v[63:64] offset0:78 offset1:117
	ds_write2_b64 v139, v[8:9], v[4:5] offset0:156 offset1:195
	v_add_u32_e32 v28, 0x400, v139
	ds_write2_b64 v28, v[0:1], v[2:3] offset0:106 offset1:145
	ds_write2_b64 v30, v[12:13], v[22:23] offset0:56 offset1:95
	;; [unrolled: 1-line block ×4, first 2 shown]
	s_waitcnt lgkmcnt(0)
	s_barrier
	ds_read2_b64 v[12:15], v30 offset0:17 offset1:56
	ds_read2_b64 v[0:3], v139 offset0:39 offset1:78
	;; [unrolled: 1-line block ×6, first 2 shown]
	ds_read_b64 v[24:25], v138
	ds_read_b64 v[26:27], v139 offset:4056
	v_add_f64 v[45:46], v[31:32], -v[35:36]
	v_add_f64 v[31:32], v[35:36], v[31:32]
	s_waitcnt lgkmcnt(0)
	s_barrier
	ds_write2_b64 v139, v[75:76], v[51:52] offset1:39
	ds_write2_b64 v139, v[61:62], v[65:66] offset0:78 offset1:117
	ds_write2_b64 v139, v[47:48], v[41:42] offset0:156 offset1:195
	;; [unrolled: 1-line block ×6, first 2 shown]
	s_waitcnt lgkmcnt(0)
	s_barrier
	s_and_saveexec_b64 s[0:1], vcc
	s_cbranch_execz .LBB0_28
; %bb.27:
	v_mov_b32_e32 v129, 0
	v_lshlrev_b64 v[28:29], 4, v[128:129]
	v_mov_b32_e32 v30, s13
	v_add_co_u32_e32 v28, vcc, s12, v28
	v_addc_co_u32_e32 v29, vcc, v30, v29, vcc
	v_add_co_u32_e32 v56, vcc, 0x1000, v28
	v_addc_co_u32_e32 v57, vcc, 0, v29, vcc
	global_load_dwordx4 v[28:31], v[56:57], off offset:3808
	global_load_dwordx4 v[32:35], v[56:57], off offset:3184
	;; [unrolled: 1-line block ×7, first 2 shown]
	v_mad_u64_u32 v[80:81], s[0:1], s4, v132, 0
	s_mov_b32 s0, 0xe01e01e1
	v_mul_hi_u32 v77, v128, s0
	v_mul_lo_u32 v90, s5, v132
	v_mul_lo_u32 v91, s4, v133
	v_add_u32_e32 v76, 0x800, v139
	v_sub_u32_e32 v78, v128, v77
	v_lshrrev_b32_e32 v78, 1, v78
	v_add_u32_e32 v77, v78, v77
	v_lshrrev_b32_e32 v77, 8, v77
	v_mul_u32_u24_e32 v77, 0x111, v77
	v_sub_u32_e32 v102, v128, v77
	v_mad_u64_u32 v[88:89], s[2:3], s20, v102, 0
	ds_read2_b64 v[56:59], v139 offset0:195 offset1:234
	ds_read2_b64 v[60:63], v139 offset0:117 offset1:156
	;; [unrolled: 1-line block ×3, first 2 shown]
	ds_read_b64 v[82:83], v139 offset:4056
	ds_read_b64 v[84:85], v138
	ds_read2_b64 v[68:71], v76 offset0:173 offset1:212
	ds_read2_b64 v[72:75], v76 offset0:95 offset1:134
	v_add3_u32 v81, v81, v91, v90
	v_lshlrev_b64 v[80:81], 4, v[80:81]
	v_mov_b32_e32 v92, s11
	v_mad_u64_u32 v[89:90], s[2:3], s21, v102, v[89:90]
	v_add_co_u32_e32 v103, vcc, s10, v80
	v_addc_co_u32_e32 v104, vcc, v92, v81, vcc
	ds_read2_b64 v[76:79], v76 offset0:17 offset1:56
	v_lshlrev_b64 v[86:87], 4, v[130:131]
	s_movk_i32 s1, 0x222
	s_waitcnt vmcnt(6)
	v_mul_f64 v[80:81], v[26:27], v[30:31]
	s_waitcnt lgkmcnt(4)
	v_mul_f64 v[30:31], v[82:83], v[30:31]
	s_waitcnt vmcnt(5)
	v_mul_f64 v[90:91], v[22:23], v[34:35]
	s_waitcnt lgkmcnt(2)
	v_mul_f64 v[34:35], v[70:71], v[34:35]
	s_waitcnt vmcnt(4)
	v_mul_f64 v[92:93], v[20:21], v[38:39]
	v_mul_f64 v[38:39], v[68:69], v[38:39]
	s_waitcnt vmcnt(3)
	v_mul_f64 v[94:95], v[18:19], v[42:43]
	s_waitcnt lgkmcnt(1)
	v_mul_f64 v[42:43], v[74:75], v[42:43]
	s_waitcnt vmcnt(2)
	v_mul_f64 v[96:97], v[16:17], v[46:47]
	v_mul_f64 v[46:47], v[72:73], v[46:47]
	s_waitcnt vmcnt(1)
	v_mul_f64 v[98:99], v[14:15], v[50:51]
	s_waitcnt vmcnt(0)
	v_mul_f64 v[100:101], v[12:13], v[54:55]
	s_waitcnt lgkmcnt(0)
	v_mul_f64 v[54:55], v[76:77], v[54:55]
	v_fma_f64 v[80:81], v[82:83], v[28:29], -v[80:81]
	v_fma_f64 v[26:27], v[26:27], v[28:29], v[30:31]
	v_fma_f64 v[28:29], v[70:71], v[32:33], -v[90:91]
	v_fma_f64 v[22:23], v[22:23], v[32:33], v[34:35]
	v_fma_f64 v[20:21], v[20:21], v[36:37], v[38:39]
	v_fma_f64 v[32:33], v[74:75], v[40:41], -v[94:95]
	v_mul_f64 v[50:51], v[78:79], v[50:51]
	v_fma_f64 v[30:31], v[68:69], v[36:37], -v[92:93]
	v_fma_f64 v[34:35], v[18:19], v[40:41], v[42:43]
	v_fma_f64 v[36:37], v[72:73], v[44:45], -v[96:97]
	v_fma_f64 v[38:39], v[16:17], v[44:45], v[46:47]
	v_fma_f64 v[40:41], v[78:79], v[48:49], -v[98:99]
	v_fma_f64 v[44:45], v[76:77], v[52:53], -v[100:101]
	v_fma_f64 v[46:47], v[12:13], v[52:53], v[54:55]
	v_add_f64 v[18:19], v[56:57], -v[28:29]
	v_add_f64 v[20:21], v[6:7], -v[20:21]
	;; [unrolled: 1-line block ×3, first 2 shown]
	v_fma_f64 v[42:43], v[14:15], v[48:49], v[50:51]
	v_add_f64 v[14:15], v[58:59], -v[80:81]
	v_add_f64 v[16:17], v[8:9], -v[22:23]
	;; [unrolled: 1-line block ×9, first 2 shown]
	v_fma_f64 v[46:47], v[6:7], 2.0, -v[20:21]
	v_fma_f64 v[6:7], v[60:61], 2.0, -v[28:29]
	v_add_u32_e32 v60, 0x111, v102
	v_fma_f64 v[44:45], v[58:59], 2.0, -v[14:15]
	v_mad_u64_u32 v[58:59], s[2:3], s20, v60, 0
	v_add_u32_e32 v61, 39, v128
	v_fma_f64 v[50:51], v[2:3], 2.0, -v[30:31]
	v_fma_f64 v[2:3], v[64:65], 2.0, -v[36:37]
	v_mul_hi_u32 v64, v61, s0
	v_mad_u64_u32 v[59:60], s[2:3], s21, v60, v[59:60]
	v_add_f64 v[26:27], v[4:5], -v[34:35]
	v_sub_u32_e32 v60, v61, v64
	v_lshrrev_b32_e32 v60, 1, v60
	v_add_f64 v[34:35], v[0:1], -v[42:43]
	v_fma_f64 v[42:43], v[10:11], 2.0, -v[12:13]
	v_fma_f64 v[10:11], v[56:57], 2.0, -v[18:19]
	v_fma_f64 v[56:57], v[84:85], 2.0, -v[40:41]
	v_fma_f64 v[54:55], v[24:25], 2.0, -v[38:39]
	v_add_u32_e32 v60, v60, v64
	v_lshrrev_b32_e32 v60, 8, v60
	v_mul_u32_u24_e32 v64, 0x111, v60
	v_sub_u32_e32 v61, v61, v64
	v_fma_f64 v[48:49], v[62:63], 2.0, -v[22:23]
	v_add_co_u32_e32 v62, vcc, v103, v86
	v_lshlrev_b64 v[24:25], 4, v[88:89]
	v_mad_u32_u24 v64, v60, s1, v61
	v_addc_co_u32_e32 v63, vcc, v104, v87, vcc
	v_mad_u64_u32 v[60:61], s[2:3], s20, v64, 0
	v_add_co_u32_e32 v24, vcc, v62, v24
	v_addc_co_u32_e32 v25, vcc, v63, v25, vcc
	global_store_dwordx4 v[24:25], v[54:57], off
	v_lshlrev_b64 v[24:25], 4, v[58:59]
	v_mov_b32_e32 v54, v61
	v_mad_u64_u32 v[54:55], s[2:3], s21, v64, v[54:55]
	v_add_co_u32_e32 v24, vcc, v62, v24
	v_addc_co_u32_e32 v25, vcc, v63, v25, vcc
	global_store_dwordx4 v[24:25], v[38:41], off
	v_mov_b32_e32 v61, v54
	v_add_u32_e32 v40, 0x111, v64
	v_mad_u64_u32 v[38:39], s[2:3], s20, v40, 0
	v_add_u32_e32 v41, 0x4e, v128
	v_mul_hi_u32 v54, v41, s0
	v_mad_u64_u32 v[39:40], s[2:3], s21, v40, v[39:40]
	v_fma_f64 v[0:1], v[0:1], 2.0, -v[34:35]
	v_sub_u32_e32 v40, v41, v54
	v_lshrrev_b32_e32 v40, 1, v40
	v_add_u32_e32 v40, v40, v54
	v_lshrrev_b32_e32 v40, 8, v40
	v_mul_u32_u24_e32 v54, 0x111, v40
	v_sub_u32_e32 v41, v41, v54
	v_mad_u32_u24 v54, v40, s1, v41
	v_lshlrev_b64 v[24:25], 4, v[60:61]
	v_mad_u64_u32 v[40:41], s[2:3], s20, v54, 0
	v_add_co_u32_e32 v24, vcc, v62, v24
	v_addc_co_u32_e32 v25, vcc, v63, v25, vcc
	global_store_dwordx4 v[24:25], v[0:3], off
	v_fma_f64 v[4:5], v[4:5], 2.0, -v[26:27]
	v_lshlrev_b64 v[0:1], 4, v[38:39]
	v_mov_b32_e32 v2, v41
	v_mad_u64_u32 v[2:3], s[2:3], s21, v54, v[2:3]
	v_add_co_u32_e32 v0, vcc, v62, v0
	v_addc_co_u32_e32 v1, vcc, v63, v1, vcc
	global_store_dwordx4 v[0:1], v[34:37], off
	v_add_u32_e32 v24, 0x111, v54
	v_add_u32_e32 v34, 0x75, v128
	v_mov_b32_e32 v41, v2
	v_mad_u64_u32 v[2:3], s[2:3], s20, v24, 0
	v_mul_hi_u32 v35, v34, s0
	v_fma_f64 v[52:53], v[66:67], 2.0, -v[32:33]
	v_mad_u64_u32 v[24:25], s[2:3], s21, v24, v[3:4]
	v_sub_u32_e32 v3, v34, v35
	v_lshrrev_b32_e32 v3, 1, v3
	v_add_u32_e32 v3, v3, v35
	v_lshrrev_b32_e32 v3, 8, v3
	v_mul_u32_u24_e32 v25, 0x111, v3
	v_sub_u32_e32 v25, v34, v25
	v_mad_u32_u24 v25, v3, s1, v25
	v_lshlrev_b64 v[0:1], 4, v[40:41]
	v_mad_u64_u32 v[34:35], s[2:3], s20, v25, 0
	v_add_co_u32_e32 v0, vcc, v62, v0
	v_addc_co_u32_e32 v1, vcc, v63, v1, vcc
	v_mov_b32_e32 v3, v24
	global_store_dwordx4 v[0:1], v[50:53], off
	v_lshlrev_b64 v[0:1], 4, v[2:3]
	v_mov_b32_e32 v2, v35
	v_mad_u64_u32 v[2:3], s[2:3], s21, v25, v[2:3]
	v_add_co_u32_e32 v0, vcc, v62, v0
	v_addc_co_u32_e32 v1, vcc, v63, v1, vcc
	global_store_dwordx4 v[0:1], v[30:33], off
	v_add_u32_e32 v24, 0x111, v25
	v_add_u32_e32 v30, 0x9c, v128
	v_mov_b32_e32 v35, v2
	v_mad_u64_u32 v[2:3], s[2:3], s20, v24, 0
	v_mul_hi_u32 v31, v30, s0
	v_lshlrev_b64 v[0:1], 4, v[34:35]
	v_mad_u64_u32 v[24:25], s[2:3], s21, v24, v[3:4]
	v_sub_u32_e32 v3, v30, v31
	v_lshrrev_b32_e32 v3, 1, v3
	v_add_u32_e32 v3, v3, v31
	v_lshrrev_b32_e32 v3, 8, v3
	v_mul_u32_u24_e32 v25, 0x111, v3
	v_sub_u32_e32 v25, v30, v25
	v_mad_u32_u24 v25, v3, s1, v25
	v_mad_u64_u32 v[30:31], s[2:3], s20, v25, 0
	v_add_co_u32_e32 v0, vcc, v62, v0
	v_addc_co_u32_e32 v1, vcc, v63, v1, vcc
	v_mov_b32_e32 v3, v24
	global_store_dwordx4 v[0:1], v[4:7], off
	v_lshlrev_b64 v[0:1], 4, v[2:3]
	v_mov_b32_e32 v2, v31
	v_mad_u64_u32 v[2:3], s[2:3], s21, v25, v[2:3]
	v_add_u32_e32 v4, 0x111, v25
	v_add_u32_e32 v5, 0xc3, v128
	v_mov_b32_e32 v31, v2
	v_mad_u64_u32 v[2:3], s[2:3], s20, v4, 0
	v_mul_hi_u32 v6, v5, s0
	v_add_co_u32_e32 v0, vcc, v62, v0
	v_mad_u64_u32 v[3:4], s[2:3], s21, v4, v[3:4]
	v_sub_u32_e32 v4, v5, v6
	v_lshrrev_b32_e32 v4, 1, v4
	v_add_u32_e32 v4, v4, v6
	v_lshrrev_b32_e32 v4, 8, v4
	v_mul_u32_u24_e32 v6, 0x111, v4
	v_sub_u32_e32 v5, v5, v6
	v_addc_co_u32_e32 v1, vcc, v63, v1, vcc
	v_mad_u32_u24 v6, v4, s1, v5
	global_store_dwordx4 v[0:1], v[26:29], off
	v_lshlrev_b64 v[0:1], 4, v[30:31]
	v_mad_u64_u32 v[4:5], s[2:3], s20, v6, 0
	v_add_co_u32_e32 v0, vcc, v62, v0
	v_addc_co_u32_e32 v1, vcc, v63, v1, vcc
	global_store_dwordx4 v[0:1], v[46:49], off
	v_lshlrev_b64 v[0:1], 4, v[2:3]
	v_mov_b32_e32 v2, v5
	v_mad_u64_u32 v[2:3], s[2:3], s21, v6, v[2:3]
	v_add_co_u32_e32 v0, vcc, v62, v0
	v_addc_co_u32_e32 v1, vcc, v63, v1, vcc
	v_mov_b32_e32 v5, v2
	global_store_dwordx4 v[0:1], v[20:23], off
	v_lshlrev_b64 v[0:1], 4, v[4:5]
	v_add_u32_e32 v4, 0x111, v6
	v_mad_u64_u32 v[2:3], s[2:3], s20, v4, 0
	v_fma_f64 v[8:9], v[8:9], 2.0, -v[16:17]
	v_add_co_u32_e32 v0, vcc, v62, v0
	v_mad_u64_u32 v[3:4], s[2:3], s21, v4, v[3:4]
	v_add_u32_e32 v4, 0xea, v128
	v_mul_hi_u32 v5, v4, s0
	v_addc_co_u32_e32 v1, vcc, v63, v1, vcc
	global_store_dwordx4 v[0:1], v[8:11], off
	v_lshlrev_b64 v[0:1], 4, v[2:3]
	v_sub_u32_e32 v2, v4, v5
	v_lshrrev_b32_e32 v2, 1, v2
	v_add_u32_e32 v2, v2, v5
	v_lshrrev_b32_e32 v2, 8, v2
	v_mul_u32_u24_e32 v3, 0x111, v2
	v_sub_u32_e32 v3, v4, v3
	v_mad_u32_u24 v5, v2, s1, v3
	v_mad_u64_u32 v[2:3], s[0:1], s20, v5, 0
	v_add_u32_e32 v6, 0x111, v5
	v_add_co_u32_e32 v0, vcc, v62, v0
	v_mad_u64_u32 v[3:4], s[0:1], s21, v5, v[3:4]
	v_mad_u64_u32 v[4:5], s[0:1], s20, v6, 0
	v_addc_co_u32_e32 v1, vcc, v63, v1, vcc
	global_store_dwordx4 v[0:1], v[16:19], off
	v_lshlrev_b64 v[0:1], 4, v[2:3]
	v_mov_b32_e32 v2, v5
	v_mad_u64_u32 v[2:3], s[0:1], s21, v6, v[2:3]
	v_add_co_u32_e32 v0, vcc, v62, v0
	v_addc_co_u32_e32 v1, vcc, v63, v1, vcc
	v_mov_b32_e32 v5, v2
	global_store_dwordx4 v[0:1], v[42:45], off
	v_lshlrev_b64 v[0:1], 4, v[4:5]
	v_add_co_u32_e32 v0, vcc, v62, v0
	v_addc_co_u32_e32 v1, vcc, v63, v1, vcc
	global_store_dwordx4 v[0:1], v[12:15], off
.LBB0_28:
	s_endpgm
	.section	.rodata,"a",@progbits
	.p2align	6, 0x0
	.amdhsa_kernel fft_rtc_back_len546_factors_13_3_7_2_wgs_117_tpt_39_halfLds_dp_op_CI_CI_sbrr_dirReg
		.amdhsa_group_segment_fixed_size 0
		.amdhsa_private_segment_fixed_size 0
		.amdhsa_kernarg_size 104
		.amdhsa_user_sgpr_count 6
		.amdhsa_user_sgpr_private_segment_buffer 1
		.amdhsa_user_sgpr_dispatch_ptr 0
		.amdhsa_user_sgpr_queue_ptr 0
		.amdhsa_user_sgpr_kernarg_segment_ptr 1
		.amdhsa_user_sgpr_dispatch_id 0
		.amdhsa_user_sgpr_flat_scratch_init 0
		.amdhsa_user_sgpr_private_segment_size 0
		.amdhsa_uses_dynamic_stack 0
		.amdhsa_system_sgpr_private_segment_wavefront_offset 0
		.amdhsa_system_sgpr_workgroup_id_x 1
		.amdhsa_system_sgpr_workgroup_id_y 0
		.amdhsa_system_sgpr_workgroup_id_z 0
		.amdhsa_system_sgpr_workgroup_info 0
		.amdhsa_system_vgpr_workitem_id 0
		.amdhsa_next_free_vgpr 211
		.amdhsa_next_free_sgpr 50
		.amdhsa_reserve_vcc 1
		.amdhsa_reserve_flat_scratch 0
		.amdhsa_float_round_mode_32 0
		.amdhsa_float_round_mode_16_64 0
		.amdhsa_float_denorm_mode_32 3
		.amdhsa_float_denorm_mode_16_64 3
		.amdhsa_dx10_clamp 1
		.amdhsa_ieee_mode 1
		.amdhsa_fp16_overflow 0
		.amdhsa_exception_fp_ieee_invalid_op 0
		.amdhsa_exception_fp_denorm_src 0
		.amdhsa_exception_fp_ieee_div_zero 0
		.amdhsa_exception_fp_ieee_overflow 0
		.amdhsa_exception_fp_ieee_underflow 0
		.amdhsa_exception_fp_ieee_inexact 0
		.amdhsa_exception_int_div_zero 0
	.end_amdhsa_kernel
	.text
.Lfunc_end0:
	.size	fft_rtc_back_len546_factors_13_3_7_2_wgs_117_tpt_39_halfLds_dp_op_CI_CI_sbrr_dirReg, .Lfunc_end0-fft_rtc_back_len546_factors_13_3_7_2_wgs_117_tpt_39_halfLds_dp_op_CI_CI_sbrr_dirReg
                                        ; -- End function
	.section	.AMDGPU.csdata,"",@progbits
; Kernel info:
; codeLenInByte = 16276
; NumSgprs: 54
; NumVgprs: 211
; ScratchSize: 0
; MemoryBound: 1
; FloatMode: 240
; IeeeMode: 1
; LDSByteSize: 0 bytes/workgroup (compile time only)
; SGPRBlocks: 6
; VGPRBlocks: 52
; NumSGPRsForWavesPerEU: 54
; NumVGPRsForWavesPerEU: 211
; Occupancy: 1
; WaveLimiterHint : 1
; COMPUTE_PGM_RSRC2:SCRATCH_EN: 0
; COMPUTE_PGM_RSRC2:USER_SGPR: 6
; COMPUTE_PGM_RSRC2:TRAP_HANDLER: 0
; COMPUTE_PGM_RSRC2:TGID_X_EN: 1
; COMPUTE_PGM_RSRC2:TGID_Y_EN: 0
; COMPUTE_PGM_RSRC2:TGID_Z_EN: 0
; COMPUTE_PGM_RSRC2:TIDIG_COMP_CNT: 0
	.type	__hip_cuid_ec22706c1f1cd04c,@object ; @__hip_cuid_ec22706c1f1cd04c
	.section	.bss,"aw",@nobits
	.globl	__hip_cuid_ec22706c1f1cd04c
__hip_cuid_ec22706c1f1cd04c:
	.byte	0                               ; 0x0
	.size	__hip_cuid_ec22706c1f1cd04c, 1

	.ident	"AMD clang version 19.0.0git (https://github.com/RadeonOpenCompute/llvm-project roc-6.4.0 25133 c7fe45cf4b819c5991fe208aaa96edf142730f1d)"
	.section	".note.GNU-stack","",@progbits
	.addrsig
	.addrsig_sym __hip_cuid_ec22706c1f1cd04c
	.amdgpu_metadata
---
amdhsa.kernels:
  - .args:
      - .actual_access:  read_only
        .address_space:  global
        .offset:         0
        .size:           8
        .value_kind:     global_buffer
      - .offset:         8
        .size:           8
        .value_kind:     by_value
      - .actual_access:  read_only
        .address_space:  global
        .offset:         16
        .size:           8
        .value_kind:     global_buffer
      - .actual_access:  read_only
        .address_space:  global
        .offset:         24
        .size:           8
        .value_kind:     global_buffer
      - .actual_access:  read_only
        .address_space:  global
        .offset:         32
        .size:           8
        .value_kind:     global_buffer
      - .offset:         40
        .size:           8
        .value_kind:     by_value
      - .actual_access:  read_only
        .address_space:  global
        .offset:         48
        .size:           8
        .value_kind:     global_buffer
      - .actual_access:  read_only
        .address_space:  global
        .offset:         56
        .size:           8
        .value_kind:     global_buffer
      - .offset:         64
        .size:           4
        .value_kind:     by_value
      - .actual_access:  read_only
        .address_space:  global
        .offset:         72
        .size:           8
        .value_kind:     global_buffer
      - .actual_access:  read_only
        .address_space:  global
        .offset:         80
        .size:           8
        .value_kind:     global_buffer
      - .actual_access:  read_only
        .address_space:  global
        .offset:         88
        .size:           8
        .value_kind:     global_buffer
      - .actual_access:  write_only
        .address_space:  global
        .offset:         96
        .size:           8
        .value_kind:     global_buffer
    .group_segment_fixed_size: 0
    .kernarg_segment_align: 8
    .kernarg_segment_size: 104
    .language:       OpenCL C
    .language_version:
      - 2
      - 0
    .max_flat_workgroup_size: 117
    .name:           fft_rtc_back_len546_factors_13_3_7_2_wgs_117_tpt_39_halfLds_dp_op_CI_CI_sbrr_dirReg
    .private_segment_fixed_size: 0
    .sgpr_count:     54
    .sgpr_spill_count: 0
    .symbol:         fft_rtc_back_len546_factors_13_3_7_2_wgs_117_tpt_39_halfLds_dp_op_CI_CI_sbrr_dirReg.kd
    .uniform_work_group_size: 1
    .uses_dynamic_stack: false
    .vgpr_count:     211
    .vgpr_spill_count: 0
    .wavefront_size: 64
amdhsa.target:   amdgcn-amd-amdhsa--gfx906
amdhsa.version:
  - 1
  - 2
...

	.end_amdgpu_metadata
